;; amdgpu-corpus repo=ROCm/rocFFT kind=compiled arch=gfx906 opt=O3
	.text
	.amdgcn_target "amdgcn-amd-amdhsa--gfx906"
	.amdhsa_code_object_version 6
	.protected	bluestein_single_fwd_len1232_dim1_sp_op_CI_CI ; -- Begin function bluestein_single_fwd_len1232_dim1_sp_op_CI_CI
	.globl	bluestein_single_fwd_len1232_dim1_sp_op_CI_CI
	.p2align	8
	.type	bluestein_single_fwd_len1232_dim1_sp_op_CI_CI,@function
bluestein_single_fwd_len1232_dim1_sp_op_CI_CI: ; @bluestein_single_fwd_len1232_dim1_sp_op_CI_CI
; %bb.0:
	s_load_dwordx4 s[12:15], s[4:5], 0x28
	v_mul_u32_u24_e32 v1, 0x175, v0
	v_add_u32_sdwa v56, s6, v1 dst_sel:DWORD dst_unused:UNUSED_PAD src0_sel:DWORD src1_sel:WORD_1
	v_mov_b32_e32 v57, 0
	s_waitcnt lgkmcnt(0)
	v_cmp_gt_u64_e32 vcc, s[12:13], v[56:57]
	s_and_saveexec_b64 s[0:1], vcc
	s_cbranch_execz .LBB0_47
; %bb.1:
	s_load_dwordx4 s[0:3], s[4:5], 0x18
	s_load_dwordx2 s[16:17], s[4:5], 0x0
	s_waitcnt lgkmcnt(0)
	s_load_dwordx4 s[8:11], s[0:1], 0x0
	s_movk_i32 s0, 0xb0
	v_mul_lo_u16_sdwa v1, v1, s0 dst_sel:DWORD dst_unused:UNUSED_PAD src0_sel:WORD_1 src1_sel:DWORD
	v_sub_u16_e32 v76, v0, v1
	v_lshlrev_b32_e32 v73, 3, v76
	s_waitcnt lgkmcnt(0)
	v_mad_u64_u32 v[0:1], s[0:1], s10, v56, 0
	v_mad_u64_u32 v[2:3], s[0:1], s8, v76, 0
	v_add_co_u32_e64 v74, s[6:7], s16, v73
	v_mad_u64_u32 v[4:5], s[0:1], s11, v56, v[1:2]
	global_load_dwordx2 v[63:64], v73, s[16:17]
	v_mad_u64_u32 v[5:6], s[0:1], s9, v76, v[3:4]
	v_mov_b32_e32 v1, v4
	v_lshlrev_b64 v[0:1], 3, v[0:1]
	v_mov_b32_e32 v6, s15
	v_mov_b32_e32 v3, v5
	v_add_co_u32_e32 v4, vcc, s14, v0
	v_addc_co_u32_e32 v5, vcc, v6, v1, vcc
	v_lshlrev_b64 v[0:1], 3, v[2:3]
	s_mul_i32 s0, s9, 0x268
	s_mul_hi_u32 s1, s8, 0x268
	v_add_co_u32_e32 v0, vcc, v4, v0
	v_mov_b32_e32 v2, s17
	s_add_i32 s1, s1, s0
	s_mul_i32 s0, s8, 0x268
	v_addc_co_u32_e32 v1, vcc, v5, v1, vcc
	v_addc_co_u32_e64 v75, vcc, 0, v2, s[6:7]
	s_lshl_b64 s[14:15], s[0:1], 3
	v_mov_b32_e32 v14, s15
	v_add_co_u32_e32 v2, vcc, s14, v0
	v_addc_co_u32_e32 v3, vcc, v1, v14, vcc
	s_movk_i32 s0, 0x1000
	s_mul_hi_u32 s1, s8, 0xfffffe48
	v_add_co_u32_e32 v8, vcc, s0, v74
	s_mul_i32 s0, s9, 0xfffffe48
	s_sub_i32 s1, s1, s8
	s_add_i32 s1, s1, s0
	s_mul_i32 s0, s8, 0xfffffe48
	v_addc_co_u32_e32 v9, vcc, 0, v75, vcc
	s_lshl_b64 s[18:19], s[0:1], 3
	global_load_dwordx2 v[4:5], v[0:1], off
	global_load_dwordx2 v[6:7], v[2:3], off
	v_mov_b32_e32 v15, s19
	v_add_co_u32_e32 v0, vcc, s18, v2
	v_addc_co_u32_e32 v1, vcc, v3, v15, vcc
	v_add_co_u32_e32 v2, vcc, s14, v0
	global_load_dwordx2 v[61:62], v[8:9], off offset:832
	global_load_dwordx2 v[59:60], v73, s[16:17] offset:1408
	v_addc_co_u32_e32 v3, vcc, v1, v14, vcc
	global_load_dwordx2 v[10:11], v[0:1], off
	global_load_dwordx2 v[12:13], v[2:3], off
	global_load_dwordx2 v[57:58], v[8:9], off offset:2240
	v_add_co_u32_e32 v0, vcc, s18, v2
	v_addc_co_u32_e32 v1, vcc, v3, v15, vcc
	global_load_dwordx2 v[2:3], v[0:1], off
	global_load_dwordx2 v[52:53], v73, s[16:17] offset:2816
	v_add_co_u32_e32 v0, vcc, s14, v0
	v_addc_co_u32_e32 v1, vcc, v1, v14, vcc
	global_load_dwordx2 v[54:55], v[8:9], off offset:3648
	global_load_dwordx2 v[14:15], v[0:1], off
	s_load_dwordx2 s[12:13], s[4:5], 0x38
	s_load_dwordx4 s[8:11], s[2:3], 0x0
	s_movk_i32 s0, 0x58
	v_cmp_gt_u16_e64 s[0:1], s0, v76
	s_waitcnt vmcnt(10)
	v_mul_f32_e32 v8, v5, v64
	v_mul_f32_e32 v9, v4, v64
	v_fmac_f32_e32 v8, v4, v63
	v_fma_f32 v9, v5, v63, -v9
	s_waitcnt vmcnt(8)
	v_mul_f32_e32 v4, v7, v62
	v_mul_f32_e32 v5, v6, v62
	v_fmac_f32_e32 v4, v6, v61
	v_fma_f32 v5, v7, v61, -v5
	s_waitcnt vmcnt(6)
	v_mul_f32_e32 v6, v11, v60
	v_mul_f32_e32 v7, v10, v60
	v_fmac_f32_e32 v6, v10, v59
	v_fma_f32 v7, v11, v59, -v7
	ds_write_b64 v73, v[4:5] offset:4928
	ds_write2_b64 v73, v[8:9], v[6:7] offset1:176
	s_waitcnt vmcnt(2)
	v_mul_f32_e32 v6, v3, v53
	v_mul_f32_e32 v7, v2, v53
	;; [unrolled: 1-line block ×4, first 2 shown]
	v_fmac_f32_e32 v6, v2, v52
	v_fma_f32 v7, v3, v52, -v7
	s_waitcnt vmcnt(0)
	v_mul_f32_e32 v2, v15, v55
	v_mul_f32_e32 v3, v14, v55
	v_fmac_f32_e32 v4, v12, v57
	v_fma_f32 v5, v13, v57, -v5
	ds_write_b64 v73, v[6:7] offset:2816
	v_fmac_f32_e32 v2, v14, v54
	v_fma_f32 v3, v15, v54, -v3
	v_add_u32_e32 v6, 0x1800, v73
	ds_write2_b64 v6, v[4:5], v[2:3] offset0:24 offset1:200
	s_and_saveexec_b64 s[2:3], s[0:1]
	s_cbranch_execz .LBB0_3
; %bb.2:
	v_mov_b32_e32 v2, s19
	v_add_co_u32_e32 v0, vcc, s18, v0
	v_addc_co_u32_e32 v1, vcc, v1, v2, vcc
	v_add_co_u32_e32 v4, vcc, 0x1000, v74
	v_addc_co_u32_e32 v5, vcc, 0, v75, vcc
	global_load_dwordx2 v[2:3], v[0:1], off
	v_mov_b32_e32 v6, s15
	v_add_co_u32_e32 v0, vcc, s14, v0
	v_addc_co_u32_e32 v1, vcc, v1, v6, vcc
	v_add_co_u32_e32 v6, vcc, 0x2000, v74
	global_load_dwordx2 v[4:5], v[4:5], off offset:128
	v_addc_co_u32_e32 v7, vcc, 0, v75, vcc
	global_load_dwordx2 v[6:7], v[6:7], off offset:960
	s_waitcnt vmcnt(1)
	v_mul_f32_e32 v8, v3, v5
	global_load_dwordx2 v[0:1], v[0:1], off
	v_mul_f32_e32 v5, v2, v5
	v_fmac_f32_e32 v8, v2, v4
	v_fma_f32 v9, v3, v4, -v5
	ds_write_b64 v73, v[8:9] offset:4224
	s_waitcnt vmcnt(0)
	v_mul_f32_e32 v2, v1, v7
	v_mul_f32_e32 v3, v0, v7
	v_fmac_f32_e32 v2, v0, v6
	v_fma_f32 v3, v1, v6, -v3
	ds_write_b64 v73, v[2:3] offset:9152
.LBB0_3:
	s_or_b64 exec, exec, s[2:3]
	v_add_u32_e32 v4, 0x1200, v73
	s_waitcnt lgkmcnt(0)
	s_barrier
	ds_read2_b64 v[0:3], v73 offset1:176
	ds_read2_b64 v[4:7], v4 offset0:40 offset1:216
	ds_read_b64 v[8:9], v73 offset:2816
	ds_read_b64 v[12:13], v73 offset:7744
                                        ; implicit-def: $vgpr14
                                        ; implicit-def: $vgpr10
	s_and_saveexec_b64 s[2:3], s[0:1]
	s_cbranch_execz .LBB0_5
; %bb.4:
	ds_read_b64 v[10:11], v73 offset:4224
	ds_read_b64 v[14:15], v73 offset:9152
.LBB0_5:
	s_or_b64 exec, exec, s[2:3]
	s_load_dwordx2 s[4:5], s[4:5], 0x8
	s_waitcnt lgkmcnt(0)
	v_sub_f32_e32 v6, v2, v6
	v_sub_f32_e32 v7, v3, v7
	v_lshlrev_b32_e32 v16, 1, v76
	v_add_co_u32_e32 v17, vcc, 0x210, v76
	v_sub_f32_e32 v20, v0, v4
	v_sub_f32_e32 v21, v1, v5
	v_fma_f32 v4, v2, 2.0, -v6
	v_fma_f32 v5, v3, 2.0, -v7
	v_sub_f32_e32 v24, v8, v12
	v_sub_f32_e32 v25, v9, v13
	;; [unrolled: 1-line block ×4, first 2 shown]
	v_fma_f32 v18, v0, 2.0, -v20
	v_fma_f32 v19, v1, 2.0, -v21
	;; [unrolled: 1-line block ×6, first 2 shown]
	v_lshlrev_b32_e32 v81, 4, v76
	v_add_u32_e32 v87, 0x160, v16
	v_lshlrev_b32_e32 v8, 3, v16
	v_add_u32_e32 v88, 0x2c0, v16
	v_lshlrev_b32_e32 v80, 4, v17
	s_barrier
	ds_write_b128 v81, v[18:21]
	ds_write_b128 v8, v[4:7] offset:2816
	ds_write_b128 v8, v[22:25] offset:5632
	s_and_saveexec_b64 s[2:3], s[0:1]
	s_cbranch_execz .LBB0_7
; %bb.6:
	ds_write_b128 v80, v[0:3]
.LBB0_7:
	s_or_b64 exec, exec, s[2:3]
	v_add_u32_e32 v8, 0x1200, v73
	s_waitcnt lgkmcnt(0)
	s_barrier
	ds_read2_b64 v[4:7], v73 offset1:176
	ds_read2_b64 v[8:11], v8 offset0:40 offset1:216
	ds_read_b64 v[12:13], v73 offset:2816
	ds_read_b64 v[14:15], v73 offset:7744
	s_and_saveexec_b64 s[2:3], s[0:1]
	s_cbranch_execz .LBB0_9
; %bb.8:
	ds_read_b64 v[0:1], v73 offset:4224
	ds_read_b64 v[2:3], v73 offset:9152
.LBB0_9:
	s_or_b64 exec, exec, s[2:3]
	v_and_b32_e32 v79, 1, v76
	v_lshlrev_b32_e32 v18, 3, v79
	global_load_dwordx2 v[48:49], v18, s[4:5]
	s_movk_i32 s2, 0x1fc
	s_movk_i32 s3, 0x3fc
	;; [unrolled: 1-line block ×3, first 2 shown]
	v_and_or_b32 v18, v16, s2, v79
	v_and_or_b32 v19, v87, s3, v79
	;; [unrolled: 1-line block ×3, first 2 shown]
	v_lshlrev_b32_e32 v85, 3, v18
	v_lshlrev_b32_e32 v84, 3, v19
	;; [unrolled: 1-line block ×4, first 2 shown]
	s_waitcnt vmcnt(0) lgkmcnt(0)
	s_barrier
	v_mul_f32_e32 v18, v9, v49
	v_mul_f32_e32 v19, v8, v49
	;; [unrolled: 1-line block ×8, first 2 shown]
	v_fma_f32 v8, v8, v48, -v18
	v_fmac_f32_e32 v19, v9, v48
	v_fma_f32 v9, v10, v48, -v20
	v_fmac_f32_e32 v21, v11, v48
	v_fma_f32 v10, v14, v48, -v22
	v_fma_f32 v11, v2, v48, -v24
	v_fmac_f32_e32 v25, v3, v48
	v_fmac_f32_e32 v23, v15, v48
	v_sub_f32_e32 v2, v4, v8
	v_sub_f32_e32 v3, v5, v19
	;; [unrolled: 1-line block ×8, first 2 shown]
	v_fma_f32 v4, v4, 2.0, -v2
	v_fma_f32 v5, v5, 2.0, -v3
	;; [unrolled: 1-line block ×8, first 2 shown]
	ds_write2_b64 v85, v[4:5], v[2:3] offset1:2
	ds_write2_b64 v84, v[6:7], v[14:15] offset1:2
	ds_write2_b64 v83, v[12:13], v[18:19] offset1:2
	s_and_saveexec_b64 s[2:3], s[0:1]
	s_cbranch_execz .LBB0_11
; %bb.10:
	s_movk_i32 s14, 0x5fc
	v_and_or_b32 v0, v78, s14, v79
	v_lshlrev_b32_e32 v0, 3, v0
	ds_write2_b64 v0, v[8:9], v[10:11] offset1:2
.LBB0_11:
	s_or_b64 exec, exec, s[2:3]
	v_add_u32_e32 v4, 0x1200, v73
	s_waitcnt lgkmcnt(0)
	s_barrier
	ds_read2_b64 v[0:3], v73 offset1:176
	ds_read2_b64 v[4:7], v4 offset0:40 offset1:216
	ds_read_b64 v[12:13], v73 offset:2816
	ds_read_b64 v[14:15], v73 offset:7744
	s_and_saveexec_b64 s[2:3], s[0:1]
	s_cbranch_execz .LBB0_13
; %bb.12:
	ds_read_b64 v[8:9], v73 offset:4224
	ds_read_b64 v[10:11], v73 offset:9152
.LBB0_13:
	s_or_b64 exec, exec, s[2:3]
	v_and_b32_e32 v82, 3, v76
	v_lshlrev_b32_e32 v17, 3, v82
	global_load_dwordx2 v[50:51], v17, s[4:5] offset:16
	s_movk_i32 s2, 0x1f8
	s_movk_i32 s3, 0x3f8
	;; [unrolled: 1-line block ×3, first 2 shown]
	v_and_or_b32 v17, v16, s2, v82
	v_and_or_b32 v18, v87, s3, v82
	;; [unrolled: 1-line block ×3, first 2 shown]
	v_lshlrev_b32_e32 v91, 3, v17
	v_lshlrev_b32_e32 v90, 3, v18
	;; [unrolled: 1-line block ×3, first 2 shown]
	s_waitcnt vmcnt(0) lgkmcnt(0)
	s_barrier
	v_mul_f32_e32 v17, v5, v51
	v_mul_f32_e32 v18, v4, v51
	;; [unrolled: 1-line block ×8, first 2 shown]
	v_fma_f32 v4, v4, v50, -v17
	v_fmac_f32_e32 v18, v5, v50
	v_fma_f32 v10, v10, v50, -v23
	v_fmac_f32_e32 v24, v11, v50
	;; [unrolled: 2-line block ×4, first 2 shown]
	v_sub_f32_e32 v4, v0, v4
	v_sub_f32_e32 v5, v1, v18
	;; [unrolled: 1-line block ×8, first 2 shown]
	v_fma_f32 v0, v0, 2.0, -v4
	v_fma_f32 v1, v1, 2.0, -v5
	;; [unrolled: 1-line block ×8, first 2 shown]
	ds_write2_b64 v91, v[0:1], v[4:5] offset1:4
	ds_write2_b64 v90, v[2:3], v[6:7] offset1:4
	;; [unrolled: 1-line block ×3, first 2 shown]
	s_and_saveexec_b64 s[2:3], s[0:1]
	s_cbranch_execz .LBB0_15
; %bb.14:
	s_movk_i32 s14, 0x5f8
	v_and_or_b32 v0, v78, s14, v82
	v_lshlrev_b32_e32 v0, 3, v0
	ds_write2_b64 v0, v[8:9], v[10:11] offset1:4
.LBB0_15:
	s_or_b64 exec, exec, s[2:3]
	v_add_u32_e32 v4, 0x1200, v73
	s_waitcnt lgkmcnt(0)
	s_barrier
	ds_read2_b64 v[0:3], v73 offset1:176
	ds_read2_b64 v[4:7], v4 offset0:40 offset1:216
	ds_read_b64 v[12:13], v73 offset:2816
	ds_read_b64 v[14:15], v73 offset:7744
	s_and_saveexec_b64 s[2:3], s[0:1]
	s_cbranch_execz .LBB0_17
; %bb.16:
	ds_read_b64 v[8:9], v73 offset:4224
	ds_read_b64 v[10:11], v73 offset:9152
.LBB0_17:
	s_or_b64 exec, exec, s[2:3]
	v_and_b32_e32 v86, 7, v76
	v_lshlrev_b32_e32 v17, 3, v86
	global_load_dwordx2 v[65:66], v17, s[4:5] offset:48
	s_movk_i32 s2, 0x1f0
	s_waitcnt vmcnt(0) lgkmcnt(0)
	s_barrier
	v_mul_f32_e32 v17, v5, v66
	v_fma_f32 v17, v4, v65, -v17
	v_mul_f32_e32 v4, v4, v66
	v_fmac_f32_e32 v4, v5, v65
	v_mul_f32_e32 v5, v7, v66
	v_fma_f32 v5, v6, v65, -v5
	v_mul_f32_e32 v6, v6, v66
	v_fmac_f32_e32 v6, v7, v65
	;; [unrolled: 4-line block ×3, first 2 shown]
	v_mul_f32_e32 v15, v11, v66
	v_sub_f32_e32 v22, v0, v17
	v_fma_f32 v15, v10, v65, -v15
	v_mul_f32_e32 v10, v10, v66
	v_fma_f32 v20, v0, 2.0, -v22
	v_and_or_b32 v0, v16, s2, v86
	s_movk_i32 s2, 0x3f0
	v_fmac_f32_e32 v10, v11, v65
	v_lshlrev_b32_e32 v92, 3, v0
	v_and_or_b32 v0, v87, s2, v86
	s_movk_i32 s2, 0x7f0
	v_sub_f32_e32 v23, v1, v4
	v_sub_f32_e32 v26, v2, v5
	;; [unrolled: 1-line block ×7, first 2 shown]
	v_lshlrev_b32_e32 v93, 3, v0
	v_and_or_b32 v0, v88, s2, v86
	v_fma_f32 v21, v1, 2.0, -v23
	v_fma_f32 v24, v2, 2.0, -v26
	;; [unrolled: 1-line block ×7, first 2 shown]
	v_lshlrev_b32_e32 v94, 3, v0
	ds_write2_b64 v92, v[20:21], v[22:23] offset1:8
	ds_write2_b64 v93, v[24:25], v[26:27] offset1:8
	;; [unrolled: 1-line block ×3, first 2 shown]
	s_and_saveexec_b64 s[2:3], s[0:1]
	s_cbranch_execz .LBB0_19
; %bb.18:
	s_movk_i32 s14, 0x5f0
	v_and_or_b32 v0, v78, s14, v86
	v_lshlrev_b32_e32 v0, 3, v0
	ds_write2_b64 v0, v[32:33], v[34:35] offset1:8
.LBB0_19:
	s_or_b64 exec, exec, s[2:3]
	s_movk_i32 s2, 0x70
	v_cmp_gt_u16_e64 s[2:3], s2, v76
	s_waitcnt lgkmcnt(0)
	s_barrier
	s_waitcnt lgkmcnt(0)
                                        ; implicit-def: $vgpr36
                                        ; implicit-def: $vgpr40
	s_and_saveexec_b64 s[14:15], s[2:3]
	s_cbranch_execz .LBB0_21
; %bb.20:
	v_add_u32_e32 v0, 0x400, v73
	ds_read2_b64 v[24:27], v0 offset0:96 offset1:208
	v_add_u32_e32 v0, 0xc00, v73
	ds_read2_b64 v[28:31], v0 offset0:64 offset1:176
	;; [unrolled: 2-line block ×3, first 2 shown]
	v_add_u32_e32 v0, 0x1800, v73
	ds_read2_b64 v[20:23], v73 offset1:112
	ds_read2_b64 v[36:39], v0 offset0:128 offset1:240
	ds_read_b64 v[40:41], v73 offset:8960
.LBB0_21:
	s_or_b64 exec, exec, s[14:15]
	v_mov_b32_e32 v0, s4
	v_and_b32_e32 v77, 15, v76
	s_movk_i32 s14, 0x50
	v_mov_b32_e32 v1, s5
	v_mad_u64_u32 v[42:43], s[14:15], v77, s14, v[0:1]
	global_load_dwordx4 v[12:15], v[42:43], off offset:112
	global_load_dwordx4 v[4:7], v[42:43], off offset:128
	;; [unrolled: 1-line block ×5, first 2 shown]
	s_mov_b32 s16, 0x3f575c64
	s_mov_b32 s18, 0x3ed4b147
	;; [unrolled: 1-line block ×5, first 2 shown]
	s_waitcnt vmcnt(0) lgkmcnt(0)
	s_barrier
	v_mul_f32_e32 v44, v23, v13
	v_mul_f32_e32 v42, v22, v13
	;; [unrolled: 1-line block ×12, first 2 shown]
	v_fmac_f32_e32 v43, v25, v14
	v_fma_f32 v25, v26, v4, -v67
	v_fma_f32 v26, v22, v12, -v44
	v_fmac_f32_e32 v42, v23, v12
	v_fmac_f32_e32 v69, v31, v0
	v_fma_f32 v31, v40, v18, -v102
	v_fmac_f32_e32 v97, v41, v18
	v_mul_f32_e32 v47, v28, v7
	v_mul_f32_e32 v100, v37, v11
	;; [unrolled: 1-line block ×3, first 2 shown]
	v_fma_f32 v24, v24, v14, -v45
	v_fma_f32 v23, v30, v0, -v95
	;; [unrolled: 1-line block ×3, first 2 shown]
	v_fmac_f32_e32 v96, v39, v16
	v_sub_f32_e32 v106, v26, v31
	v_sub_f32_e32 v115, v42, v97
	v_mul_f32_e32 v68, v29, v7
	v_mul_f32_e32 v98, v33, v3
	;; [unrolled: 1-line block ×4, first 2 shown]
	v_fmac_f32_e32 v46, v27, v4
	v_fmac_f32_e32 v47, v29, v6
	v_fma_f32 v29, v36, v10, -v100
	v_fmac_f32_e32 v72, v37, v10
	v_add_f32_e32 v125, v42, v97
	v_sub_f32_e32 v107, v24, v30
	v_sub_f32_e32 v117, v43, v96
	v_mul_f32_e32 v36, 0xbf0a6770, v115
	v_mul_f32_e32 v41, 0xbf0a6770, v106
	;; [unrolled: 1-line block ×3, first 2 shown]
	v_fma_f32 v22, v28, v6, -v68
	v_fma_f32 v27, v32, v2, -v98
	;; [unrolled: 1-line block ×3, first 2 shown]
	v_fmac_f32_e32 v71, v35, v8
	v_add_f32_e32 v102, v26, v31
	v_add_f32_e32 v126, v43, v96
	v_sub_f32_e32 v108, v25, v29
	v_sub_f32_e32 v118, v46, v72
	v_mul_f32_e32 v37, 0xbf68dda4, v117
	v_mul_f32_e32 v98, 0xbf68dda4, v107
	v_fma_f32 v32, v125, s16, -v41
	v_mov_b32_e32 v34, v36
	v_fmac_f32_e32 v70, v33, v2
	v_add_f32_e32 v103, v24, v30
	v_add_f32_e32 v124, v46, v72
	v_sub_f32_e32 v114, v47, v71
	v_sub_f32_e32 v110, v22, v28
	v_mul_f32_e32 v40, 0xbf7d64f0, v108
	v_mul_f32_e32 v39, 0xbf7d64f0, v118
	v_fma_f32 v33, v126, s18, -v98
	v_mov_b32_e32 v35, v37
	v_add_f32_e32 v32, v21, v32
	v_fmac_f32_e32 v34, 0x3f575c64, v102
	v_add_f32_e32 v104, v25, v29
	v_add_f32_e32 v127, v47, v71
	v_mul_f32_e32 v38, 0xbf4178ce, v114
	v_fma_f32 v44, v124, s19, -v40
	v_mov_b32_e32 v45, v39
	v_fmac_f32_e32 v35, 0x3ed4b147, v103
	v_add_f32_e32 v32, v33, v32
	v_add_f32_e32 v33, v20, v34
	v_mul_f32_e32 v99, 0xbf4178ce, v110
	v_sub_f32_e32 v135, v69, v70
	v_add_f32_e32 v105, v22, v28
	v_mov_b32_e32 v67, v38
	v_fmac_f32_e32 v45, 0xbe11bafb, v104
	v_add_f32_e32 v33, v35, v33
	v_add_f32_e32 v32, v44, v32
	v_fma_f32 v34, v127, s20, -v99
	v_mul_f32_e32 v100, 0xbe903f40, v135
	v_fmac_f32_e32 v67, 0xbf27a4f4, v105
	v_add_f32_e32 v33, v45, v33
	v_add_f32_e32 v32, v34, v32
	;; [unrolled: 1-line block ×3, first 2 shown]
	v_mov_b32_e32 v34, v100
	v_sub_f32_e32 v130, v23, v27
	v_add_f32_e32 v33, v67, v33
	v_fmac_f32_e32 v34, 0xbf75a155, v128
	v_add_f32_e32 v141, v69, v70
	v_mul_f32_e32 v101, 0xbe903f40, v130
	v_add_f32_e32 v67, v34, v33
	v_fma_f32 v33, v141, s21, -v101
	v_mul_f32_e32 v109, 0xbf68dda4, v115
	v_add_f32_e32 v68, v33, v32
	v_mov_b32_e32 v32, v109
	v_mul_f32_e32 v111, 0xbf4178ce, v117
	v_fmac_f32_e32 v32, 0x3ed4b147, v102
	v_mov_b32_e32 v33, v111
	v_add_f32_e32 v32, v20, v32
	v_fmac_f32_e32 v33, 0xbf27a4f4, v103
	v_mul_f32_e32 v116, 0xbf68dda4, v106
	v_add_f32_e32 v32, v33, v32
	v_fma_f32 v33, v125, s18, -v116
	v_mul_f32_e32 v119, 0xbf4178ce, v107
	v_add_f32_e32 v33, v21, v33
	v_fma_f32 v34, v126, s20, -v119
	v_mul_f32_e32 v112, 0x3e903f40, v118
	v_add_f32_e32 v33, v34, v33
	v_mov_b32_e32 v34, v112
	v_fmac_f32_e32 v34, 0xbf75a155, v104
	v_mul_f32_e32 v121, 0x3e903f40, v108
	v_add_f32_e32 v32, v34, v32
	v_fma_f32 v34, v124, s21, -v121
	v_mul_f32_e32 v113, 0x3f7d64f0, v114
	v_add_f32_e32 v33, v34, v33
	v_mov_b32_e32 v34, v113
	v_fmac_f32_e32 v34, 0xbe11bafb, v105
	;; [unrolled: 7-line block ×3, first 2 shown]
	v_mul_f32_e32 v123, 0x3f0a6770, v130
	v_mul_f32_e32 v129, 0xbf7d64f0, v115
	v_fma_f32 v35, v141, s16, -v123
	v_add_f32_e32 v34, v34, v32
	v_mov_b32_e32 v32, v129
	v_mul_f32_e32 v131, 0x3e903f40, v117
	v_add_f32_e32 v35, v35, v33
	v_fmac_f32_e32 v32, 0xbe11bafb, v102
	v_mov_b32_e32 v33, v131
	v_add_f32_e32 v32, v20, v32
	v_fmac_f32_e32 v33, 0xbf75a155, v103
	v_mul_f32_e32 v132, 0x3f68dda4, v118
	v_add_f32_e32 v32, v33, v32
	v_mov_b32_e32 v33, v132
	v_fmac_f32_e32 v33, 0x3ed4b147, v104
	v_mul_f32_e32 v133, 0xbf0a6770, v114
	v_add_f32_e32 v32, v33, v32
	v_mov_b32_e32 v33, v133
	;; [unrolled: 4-line block ×3, first 2 shown]
	v_fmac_f32_e32 v33, 0xbf27a4f4, v128
	v_mul_f32_e32 v136, 0xbf7d64f0, v106
	v_add_f32_e32 v32, v33, v32
	v_fma_f32 v33, v125, s19, -v136
	v_mul_f32_e32 v137, 0x3e903f40, v107
	v_add_f32_e32 v33, v21, v33
	v_fma_f32 v44, v126, s21, -v137
	;; [unrolled: 3-line block ×5, first 2 shown]
	v_mul_f32_e32 v142, 0xbf4178ce, v115
	v_add_f32_e32 v33, v44, v33
	v_mov_b32_e32 v44, v142
	v_mul_f32_e32 v143, 0x3f7d64f0, v117
	v_fmac_f32_e32 v44, 0xbf27a4f4, v102
	v_mov_b32_e32 v45, v143
	v_add_f32_e32 v44, v20, v44
	v_fmac_f32_e32 v45, 0xbe11bafb, v103
	v_mul_f32_e32 v146, 0xbf4178ce, v106
	v_add_f32_e32 v44, v45, v44
	v_fma_f32 v45, v125, s20, -v146
	v_mul_f32_e32 v147, 0x3f7d64f0, v107
	v_add_f32_e32 v45, v21, v45
	v_fma_f32 v95, v126, s19, -v147
	v_mul_f32_e32 v144, 0xbf0a6770, v118
	v_add_f32_e32 v45, v95, v45
	v_mov_b32_e32 v95, v144
	v_fmac_f32_e32 v95, 0x3f575c64, v104
	v_mul_f32_e32 v149, 0xbf0a6770, v108
	v_add_f32_e32 v44, v95, v44
	v_fma_f32 v95, v124, s16, -v149
	v_mul_f32_e32 v145, 0xbe903f40, v114
	v_add_f32_e32 v45, v95, v45
	v_mov_b32_e32 v95, v145
	v_fmac_f32_e32 v95, 0xbf75a155, v105
	;; [unrolled: 7-line block ×3, first 2 shown]
	v_mul_f32_e32 v151, 0x3f68dda4, v130
	v_add_f32_e32 v44, v95, v44
	v_fma_f32 v95, v141, s18, -v151
	v_add_f32_e32 v45, v95, v45
	v_lshrrev_b32_e32 v95, 4, v76
	s_and_saveexec_b64 s[14:15], s[2:3]
	s_cbranch_execz .LBB0_23
; %bb.22:
	v_mul_f32_e32 v192, 0xbf75a155, v125
	v_mul_f32_e32 v153, 0x3f575c64, v125
	;; [unrolled: 1-line block ×9, first 2 shown]
	v_mov_b32_e32 v125, v192
	v_mul_f32_e32 v126, 0x3f575c64, v126
	v_fmac_f32_e32 v125, 0x3e903f40, v106
	v_mov_b32_e32 v193, v126
	v_add_f32_e32 v125, v21, v125
	v_fmac_f32_e32 v193, 0xbf0a6770, v107
	v_add_f32_e32 v125, v193, v125
	v_mul_f32_e32 v193, 0xbf27a4f4, v124
	v_mul_f32_e32 v169, 0xbe11bafb, v124
	;; [unrolled: 1-line block ×5, first 2 shown]
	v_mov_b32_e32 v124, v193
	v_mul_f32_e32 v177, 0xbf27a4f4, v127
	v_mul_f32_e32 v179, 0xbe11bafb, v127
	;; [unrolled: 1-line block ×4, first 2 shown]
	v_fmac_f32_e32 v124, 0x3f4178ce, v108
	v_mul_f32_e32 v127, 0x3ed4b147, v127
	v_add_f32_e32 v124, v124, v125
	v_mov_b32_e32 v125, v127
	v_mul_f32_e32 v185, 0xbf75a155, v141
	v_mul_f32_e32 v187, 0x3f575c64, v141
	;; [unrolled: 1-line block ×4, first 2 shown]
	v_fmac_f32_e32 v125, 0xbf68dda4, v110
	v_mul_f32_e32 v141, 0xbe11bafb, v141
	v_add_f32_e32 v124, v125, v124
	v_mov_b32_e32 v125, v141
	v_fmac_f32_e32 v125, 0x3f7d64f0, v130
	v_mul_f32_e32 v115, 0xbe903f40, v115
	v_add_f32_e32 v125, v125, v124
	v_mov_b32_e32 v124, v115
	v_mul_f32_e32 v117, 0x3f0a6770, v117
	v_mul_f32_e32 v152, 0x3f575c64, v102
	;; [unrolled: 1-line block ×5, first 2 shown]
	v_fmac_f32_e32 v124, 0xbf75a155, v102
	v_mov_b32_e32 v194, v117
	v_fma_f32 v102, v102, s21, -v115
	v_mul_f32_e32 v160, 0x3ed4b147, v103
	v_mul_f32_e32 v162, 0xbf27a4f4, v103
	;; [unrolled: 1-line block ×4, first 2 shown]
	v_add_f32_e32 v124, v20, v124
	v_fmac_f32_e32 v194, 0x3f575c64, v103
	v_mul_f32_e32 v118, 0xbf4178ce, v118
	v_add_f32_e32 v102, v20, v102
	v_fma_f32 v103, v103, s16, -v117
	v_add_f32_e32 v124, v194, v124
	v_mov_b32_e32 v194, v118
	v_mul_f32_e32 v114, 0x3f68dda4, v114
	v_add_f32_e32 v102, v103, v102
	v_fma_f32 v103, v104, s20, -v118
	v_fmac_f32_e32 v194, 0xbf27a4f4, v104
	v_mul_f32_e32 v135, 0xbf7d64f0, v135
	v_add_f32_e32 v102, v103, v102
	v_fma_f32 v103, v105, s18, -v114
	v_add_f32_e32 v124, v194, v124
	v_mov_b32_e32 v194, v114
	v_add_f32_e32 v102, v103, v102
	v_fma_f32 v103, v128, s19, -v135
	v_mul_f32_e32 v176, 0xbf27a4f4, v105
	v_mul_f32_e32 v178, 0xbe11bafb, v105
	;; [unrolled: 1-line block ×4, first 2 shown]
	v_fmac_f32_e32 v194, 0x3ed4b147, v105
	v_add_f32_e32 v105, v103, v102
	v_add_f32_e32 v102, v146, v159
	;; [unrolled: 1-line block ×11, first 2 shown]
	v_sub_f32_e32 v102, v158, v142
	v_mul_f32_e32 v168, 0xbe11bafb, v104
	v_mul_f32_e32 v170, 0xbf75a155, v104
	;; [unrolled: 1-line block ×4, first 2 shown]
	v_add_f32_e32 v102, v20, v102
	v_sub_f32_e32 v104, v166, v143
	v_add_f32_e32 v102, v104, v102
	v_sub_f32_e32 v104, v174, v144
	v_mul_f32_e32 v190, 0x3ed4b147, v128
	v_add_f32_e32 v102, v104, v102
	v_sub_f32_e32 v104, v182, v145
	v_add_f32_e32 v102, v104, v102
	v_sub_f32_e32 v104, v190, v148
	v_add_f32_e32 v102, v104, v102
	v_add_f32_e32 v104, v136, v157
	v_fmac_f32_e32 v126, 0x3f0a6770, v107
	v_add_f32_e32 v104, v21, v104
	v_add_f32_e32 v107, v137, v165
	;; [unrolled: 1-line block ×8, first 2 shown]
	v_fmac_f32_e32 v193, 0xbf4178ce, v108
	v_add_f32_e32 v108, v107, v104
	v_sub_f32_e32 v104, v156, v129
	v_add_f32_e32 v104, v20, v104
	v_sub_f32_e32 v107, v164, v131
	;; [unrolled: 2-line block ×3, first 2 shown]
	v_mul_f32_e32 v188, 0xbf27a4f4, v128
	v_add_f32_e32 v104, v107, v104
	v_sub_f32_e32 v107, v180, v133
	v_add_f32_e32 v104, v107, v104
	v_sub_f32_e32 v107, v188, v134
	v_add_f32_e32 v107, v107, v104
	v_add_f32_e32 v104, v116, v155
	v_fmac_f32_e32 v127, 0x3f68dda4, v110
	v_add_f32_e32 v104, v21, v104
	v_add_f32_e32 v110, v119, v163
	v_add_f32_e32 v104, v110, v104
	v_add_f32_e32 v110, v121, v171
	v_add_f32_e32 v104, v110, v104
	v_add_f32_e32 v110, v122, v179
	v_add_f32_e32 v104, v110, v104
	v_add_f32_e32 v110, v123, v187
	v_fmac_f32_e32 v192, 0xbe903f40, v106
	v_add_f32_e32 v110, v110, v104
	v_sub_f32_e32 v104, v154, v109
	v_add_f32_e32 v41, v41, v153
	v_sub_f32_e32 v36, v152, v36
	v_add_f32_e32 v106, v21, v192
	v_add_f32_e32 v104, v20, v104
	;; [unrolled: 1-line block ×15, first 2 shown]
	v_sub_f32_e32 v37, v160, v37
	v_add_f32_e32 v21, v21, v70
	v_add_f32_e32 v20, v20, v27
	v_sub_f32_e32 v109, v162, v111
	v_add_f32_e32 v41, v98, v41
	v_add_f32_e32 v40, v40, v169
	;; [unrolled: 1-line block ×3, first 2 shown]
	v_sub_f32_e32 v37, v168, v39
	v_add_f32_e32 v21, v21, v71
	v_add_f32_e32 v20, v20, v28
	v_mul_f32_e32 v184, 0xbf75a155, v128
	v_add_f32_e32 v106, v126, v106
	v_add_f32_e32 v104, v109, v104
	v_sub_f32_e32 v109, v170, v112
	v_add_f32_e32 v40, v40, v41
	v_add_f32_e32 v41, v99, v177
	;; [unrolled: 1-line block ×3, first 2 shown]
	v_sub_f32_e32 v37, v176, v38
	v_add_f32_e32 v21, v21, v72
	v_add_f32_e32 v20, v20, v29
	v_mul_u32_u24_e32 v22, 0xb0, v95
	v_mul_f32_e32 v186, 0x3f575c64, v128
	v_add_f32_e32 v124, v194, v124
	v_mov_b32_e32 v194, v135
	v_add_f32_e32 v106, v193, v106
	v_add_f32_e32 v104, v109, v104
	v_sub_f32_e32 v109, v178, v113
	v_add_f32_e32 v40, v41, v40
	v_add_f32_e32 v41, v101, v185
	;; [unrolled: 1-line block ×3, first 2 shown]
	v_sub_f32_e32 v37, v184, v100
	v_add_f32_e32 v21, v21, v96
	v_add_f32_e32 v20, v20, v30
	v_or_b32_e32 v22, v22, v77
	v_fmac_f32_e32 v194, 0xbe11bafb, v128
	v_add_f32_e32 v106, v127, v106
	v_fmac_f32_e32 v141, 0xbf7d64f0, v130
	v_add_f32_e32 v104, v109, v104
	v_sub_f32_e32 v109, v186, v120
	v_add_f32_e32 v40, v41, v40
	v_add_f32_e32 v39, v37, v36
	;; [unrolled: 1-line block ×4, first 2 shown]
	v_lshlrev_b32_e32 v22, 3, v22
	v_add_f32_e32 v124, v194, v124
	v_add_f32_e32 v106, v141, v106
	;; [unrolled: 1-line block ×3, first 2 shown]
	ds_write2_b64 v22, v[20:21], v[39:40] offset1:16
	ds_write2_b64 v22, v[109:110], v[107:108] offset0:32 offset1:48
	ds_write2_b64 v22, v[102:103], v[105:106] offset0:64 offset1:80
	;; [unrolled: 1-line block ×4, first 2 shown]
	ds_write_b64 v22, v[67:68] offset:1280
.LBB0_23:
	s_or_b64 exec, exec, s[14:15]
	v_mad_u64_u32 v[36:37], s[4:5], v76, 48, s[4:5]
	s_waitcnt lgkmcnt(0)
	s_barrier
	global_load_dwordx4 v[28:31], v[36:37], off offset:1392
	global_load_dwordx4 v[24:27], v[36:37], off offset:1408
	;; [unrolled: 1-line block ×3, first 2 shown]
	v_mov_b32_e32 v69, s17
	v_add_u32_e32 v96, 0xa00, v73
	v_add_u32_e32 v97, 0x1400, v73
	ds_read2_b64 v[36:39], v73 offset1:176
	ds_read_b64 v[46:47], v73 offset:8448
	ds_read2_b64 v[40:43], v96 offset0:32 offset1:208
	v_addc_co_u32_e64 v98, vcc, 0, v69, s[6:7]
	ds_read2_b64 v[69:72], v97 offset0:64 offset1:240
	s_mov_b32 s4, 0x3f5ff5aa
	s_mov_b32 s14, 0xbf3bfb3b
	;; [unrolled: 1-line block ×3, first 2 shown]
	s_waitcnt vmcnt(2) lgkmcnt(3)
	v_mul_f32_e32 v99, v39, v29
	v_mul_f32_e32 v100, v38, v29
	s_waitcnt lgkmcnt(1)
	v_mul_f32_e32 v101, v41, v31
	v_mul_f32_e32 v102, v40, v31
	s_waitcnt vmcnt(1)
	v_mul_f32_e32 v103, v43, v25
	v_mul_f32_e32 v104, v42, v25
	s_waitcnt vmcnt(0) lgkmcnt(0)
	v_mul_f32_e32 v107, v72, v21
	v_mul_f32_e32 v108, v71, v21
	;; [unrolled: 1-line block ×6, first 2 shown]
	v_fma_f32 v38, v38, v28, -v99
	v_fmac_f32_e32 v100, v39, v28
	v_fma_f32 v39, v40, v30, -v101
	v_fmac_f32_e32 v102, v41, v30
	;; [unrolled: 2-line block ×6, first 2 shown]
	v_add_f32_e32 v46, v38, v43
	v_add_f32_e32 v47, v100, v110
	;; [unrolled: 1-line block ×4, first 2 shown]
	v_sub_f32_e32 v38, v38, v43
	v_sub_f32_e32 v43, v100, v110
	v_add_f32_e32 v71, v40, v41
	v_add_f32_e32 v72, v104, v106
	;; [unrolled: 1-line block ×4, first 2 shown]
	v_sub_f32_e32 v39, v39, v42
	v_sub_f32_e32 v42, v102, v108
	;; [unrolled: 1-line block ×10, first 2 shown]
	v_add_f32_e32 v71, v71, v99
	v_add_f32_e32 v72, v72, v100
	;; [unrolled: 1-line block ×4, first 2 shown]
	v_sub_f32_e32 v105, v40, v39
	v_sub_f32_e32 v106, v41, v42
	v_add_f32_e32 v36, v36, v71
	v_add_f32_e32 v37, v37, v72
	v_sub_f32_e32 v40, v38, v40
	v_sub_f32_e32 v41, v43, v41
	;; [unrolled: 1-line block ×4, first 2 shown]
	v_add_f32_e32 v38, v103, v38
	v_add_f32_e32 v43, v104, v43
	v_mul_f32_e32 v46, 0x3f4a47b2, v46
	v_mul_f32_e32 v47, 0x3f4a47b2, v47
	v_mul_f32_e32 v103, 0xbf08b237, v105
	v_mul_f32_e32 v104, 0xbf08b237, v106
	v_mov_b32_e32 v107, v36
	v_mov_b32_e32 v108, v37
	v_mul_f32_e32 v99, 0x3d64c772, v69
	v_mul_f32_e32 v100, 0x3d64c772, v70
	;; [unrolled: 1-line block ×4, first 2 shown]
	v_fmac_f32_e32 v107, 0xbf955555, v71
	v_fmac_f32_e32 v108, 0xbf955555, v72
	v_fma_f32 v71, v101, s14, -v46
	v_fmac_f32_e32 v46, 0x3d64c772, v69
	v_fma_f32 v69, v102, s14, -v47
	v_fmac_f32_e32 v47, 0x3d64c772, v70
	v_fma_f32 v70, v39, s4, -v103
	v_fmac_f32_e32 v103, 0x3eae86e6, v40
	v_fma_f32 v72, v42, s4, -v104
	v_fmac_f32_e32 v104, 0x3eae86e6, v41
	s_mov_b32 s4, 0xbeae86e6
	v_fma_f32 v99, v101, s5, -v99
	v_fma_f32 v100, v102, s5, -v100
	;; [unrolled: 1-line block ×4, first 2 shown]
	v_add_f32_e32 v46, v46, v107
	v_add_f32_e32 v47, v47, v108
	v_fmac_f32_e32 v103, 0x3ee1c552, v38
	v_fmac_f32_e32 v104, 0x3ee1c552, v43
	v_add_f32_e32 v99, v99, v107
	v_add_f32_e32 v100, v100, v108
	;; [unrolled: 1-line block ×4, first 2 shown]
	v_fmac_f32_e32 v70, 0x3ee1c552, v38
	v_fmac_f32_e32 v72, 0x3ee1c552, v43
	v_fmac_f32_e32 v101, 0x3ee1c552, v38
	v_fmac_f32_e32 v102, 0x3ee1c552, v43
	v_add_f32_e32 v38, v104, v46
	v_sub_f32_e32 v39, v47, v103
	s_movk_i32 s4, 0x2680
	v_add_f32_e32 v40, v102, v71
	v_sub_f32_e32 v41, v105, v101
	v_sub_f32_e32 v42, v99, v72
	v_add_f32_e32 v43, v70, v100
	v_add_f32_e32 v69, v72, v99
	v_sub_f32_e32 v70, v100, v70
	v_sub_f32_e32 v71, v71, v102
	v_add_f32_e32 v72, v101, v105
	v_sub_f32_e32 v46, v46, v104
	v_add_f32_e32 v47, v103, v47
	ds_write2_b64 v73, v[36:37], v[38:39] offset1:176
	ds_write2_b64 v96, v[40:41], v[42:43] offset0:32 offset1:208
	ds_write2_b64 v97, v[69:70], v[71:72] offset0:64 offset1:240
	ds_write_b64 v73, v[46:47] offset:8448
	v_add_co_u32_e32 v36, vcc, s4, v74
	v_addc_co_u32_e32 v37, vcc, 0, v98, vcc
	s_movk_i32 s4, 0x2000
	v_add_co_u32_e32 v38, vcc, s4, v74
	v_addc_co_u32_e32 v39, vcc, 0, v98, vcc
	s_waitcnt lgkmcnt(0)
	s_barrier
	global_load_dwordx2 v[38:39], v[38:39], off offset:1664
	s_movk_i32 s4, 0x3000
	global_load_dwordx2 v[41:42], v[36:37], off offset:1408
	v_add_co_u32_e32 v69, vcc, s4, v74
	v_addc_co_u32_e32 v70, vcc, 0, v98, vcc
	global_load_dwordx2 v[100:101], v[69:70], off offset:2496
	global_load_dwordx2 v[102:103], v[36:37], off offset:2816
	;; [unrolled: 1-line block ×3, first 2 shown]
	v_add_co_u32_e32 v69, vcc, 0x4000, v74
	v_addc_co_u32_e32 v70, vcc, 0, v98, vcc
	global_load_dwordx2 v[106:107], v[69:70], off offset:1216
	ds_read2_b64 v[69:72], v73 offset1:176
	v_add_u32_e32 v40, 0x1200, v73
	ds_read_b64 v[108:109], v73 offset:2816
	ds_read_b64 v[110:111], v73 offset:7744
	s_waitcnt vmcnt(5) lgkmcnt(2)
	v_mul_f32_e32 v96, v70, v39
	v_mul_f32_e32 v43, v69, v39
	s_waitcnt vmcnt(4)
	v_mul_f32_e32 v112, v72, v42
	v_mul_f32_e32 v39, v71, v42
	v_fma_f32 v42, v69, v38, -v96
	v_fmac_f32_e32 v43, v70, v38
	ds_write_b64 v73, v[42:43]
	ds_read2_b64 v[96:99], v40 offset0:40 offset1:216
	s_waitcnt vmcnt(2) lgkmcnt(3)
	v_mul_f32_e32 v42, v109, v103
	v_fma_f32 v38, v71, v41, -v112
	v_fmac_f32_e32 v39, v72, v41
	v_fma_f32 v41, v108, v102, -v42
	s_waitcnt lgkmcnt(0)
	v_mul_f32_e32 v42, v97, v101
	v_mul_f32_e32 v43, v96, v101
	s_waitcnt vmcnt(1)
	v_mul_f32_e32 v69, v99, v105
	v_mul_f32_e32 v70, v98, v105
	v_fma_f32 v42, v96, v100, -v42
	v_fmac_f32_e32 v43, v97, v100
	v_fma_f32 v69, v98, v104, -v69
	v_fmac_f32_e32 v70, v99, v104
	ds_write2_b64 v40, v[42:43], v[69:70] offset0:40 offset1:216
	v_mul_f32_e32 v42, v108, v103
	v_fmac_f32_e32 v42, v109, v102
	v_add_u32_e32 v43, 0x400, v73
	ds_write2_b64 v43, v[38:39], v[41:42] offset0:48 offset1:224
	s_waitcnt vmcnt(0)
	v_mul_f32_e32 v38, v111, v107
	v_mul_f32_e32 v39, v110, v107
	v_fma_f32 v38, v110, v106, -v38
	v_fmac_f32_e32 v39, v111, v106
	ds_write_b64 v73, v[38:39] offset:7744
	s_and_saveexec_b64 s[4:5], s[0:1]
	s_cbranch_execz .LBB0_25
; %bb.24:
	v_add_co_u32_e32 v38, vcc, 0x1000, v36
	v_addc_co_u32_e32 v39, vcc, 0, v37, vcc
	v_add_co_u32_e32 v36, vcc, 0x2000, v36
	global_load_dwordx2 v[38:39], v[38:39], off offset:128
	v_addc_co_u32_e32 v37, vcc, 0, v37, vcc
	global_load_dwordx2 v[36:37], v[36:37], off offset:960
	ds_read_b64 v[41:42], v73 offset:4224
	ds_read_b64 v[69:70], v73 offset:9152
	s_waitcnt vmcnt(1) lgkmcnt(1)
	v_mul_f32_e32 v43, v42, v39
	v_mul_f32_e32 v72, v41, v39
	v_fma_f32 v71, v41, v38, -v43
	v_fmac_f32_e32 v72, v42, v38
	s_waitcnt vmcnt(0) lgkmcnt(0)
	v_mul_f32_e32 v39, v70, v37
	v_mul_f32_e32 v38, v69, v37
	v_fma_f32 v37, v69, v36, -v39
	v_fmac_f32_e32 v38, v70, v36
	ds_write_b64 v73, v[71:72] offset:4224
	ds_write_b64 v73, v[37:38] offset:9152
.LBB0_25:
	s_or_b64 exec, exec, s[4:5]
	s_waitcnt lgkmcnt(0)
	s_barrier
	ds_read2_b64 v[36:39], v73 offset1:176
	ds_read2_b64 v[40:43], v40 offset0:40 offset1:216
	ds_read_b64 v[69:70], v73 offset:2816
	ds_read_b64 v[71:72], v73 offset:7744
	v_lshlrev_b32_e32 v96, 3, v87
	v_lshlrev_b32_e32 v87, 3, v88
	s_and_saveexec_b64 s[4:5], s[0:1]
	s_cbranch_execz .LBB0_27
; %bb.26:
	ds_read_b64 v[46:47], v73 offset:4224
	ds_read_b64 v[44:45], v73 offset:9152
.LBB0_27:
	s_or_b64 exec, exec, s[4:5]
	s_waitcnt lgkmcnt(2)
	v_sub_f32_e32 v42, v38, v42
	v_sub_f32_e32 v43, v39, v43
	;; [unrolled: 1-line block ×4, first 2 shown]
	v_fma_f32 v40, v38, 2.0, -v42
	v_fma_f32 v41, v39, 2.0, -v43
	s_waitcnt lgkmcnt(0)
	v_sub_f32_e32 v38, v46, v44
	v_sub_f32_e32 v39, v47, v45
	v_fma_f32 v97, v36, 2.0, -v99
	v_fma_f32 v98, v37, 2.0, -v100
	v_sub_f32_e32 v71, v69, v71
	v_sub_f32_e32 v72, v70, v72
	v_fma_f32 v36, v46, 2.0, -v38
	v_fma_f32 v37, v47, 2.0, -v39
	;; [unrolled: 1-line block ×4, first 2 shown]
	s_barrier
	ds_write_b128 v81, v[97:100]
	ds_write_b128 v96, v[40:43]
	;; [unrolled: 1-line block ×3, first 2 shown]
	s_and_saveexec_b64 s[4:5], s[0:1]
	s_cbranch_execz .LBB0_29
; %bb.28:
	ds_write_b128 v80, v[36:39]
.LBB0_29:
	s_or_b64 exec, exec, s[4:5]
	v_add_u32_e32 v44, 0x1200, v73
	s_waitcnt lgkmcnt(0)
	s_barrier
	ds_read2_b64 v[40:43], v73 offset1:176
	ds_read2_b64 v[44:47], v44 offset0:40 offset1:216
	ds_read_b64 v[69:70], v73 offset:2816
	ds_read_b64 v[71:72], v73 offset:7744
	s_and_saveexec_b64 s[4:5], s[0:1]
	s_cbranch_execz .LBB0_31
; %bb.30:
	ds_read_b64 v[36:37], v73 offset:4224
	ds_read_b64 v[38:39], v73 offset:9152
.LBB0_31:
	s_or_b64 exec, exec, s[4:5]
	s_waitcnt lgkmcnt(2)
	v_mul_f32_e32 v80, v49, v45
	v_fmac_f32_e32 v80, v48, v44
	v_mul_f32_e32 v44, v49, v44
	v_fma_f32 v44, v48, v45, -v44
	v_mul_f32_e32 v45, v49, v47
	v_fmac_f32_e32 v45, v48, v46
	v_mul_f32_e32 v46, v49, v46
	s_waitcnt lgkmcnt(0)
	v_mul_f32_e32 v81, v49, v39
	v_fma_f32 v46, v48, v47, -v46
	v_mul_f32_e32 v47, v49, v72
	v_fmac_f32_e32 v81, v48, v38
	v_mul_f32_e32 v38, v49, v38
	v_fmac_f32_e32 v47, v48, v71
	v_mul_f32_e32 v71, v49, v71
	v_fma_f32 v87, v48, v39, -v38
	v_fma_f32 v72, v48, v72, -v71
	v_sub_f32_e32 v38, v40, v80
	v_sub_f32_e32 v39, v41, v44
	;; [unrolled: 1-line block ×6, first 2 shown]
	v_fma_f32 v40, v40, 2.0, -v38
	v_fma_f32 v41, v41, 2.0, -v39
	v_sub_f32_e32 v48, v42, v45
	v_sub_f32_e32 v72, v70, v72
	v_fma_f32 v44, v36, 2.0, -v46
	v_fma_f32 v45, v37, 2.0, -v47
	;; [unrolled: 1-line block ×6, first 2 shown]
	s_barrier
	ds_write2_b64 v85, v[40:41], v[38:39] offset1:2
	ds_write2_b64 v84, v[42:43], v[48:49] offset1:2
	;; [unrolled: 1-line block ×3, first 2 shown]
	s_and_saveexec_b64 s[4:5], s[0:1]
	s_cbranch_execz .LBB0_33
; %bb.32:
	s_movk_i32 s6, 0x5fc
	v_and_or_b32 v36, v78, s6, v79
	v_lshlrev_b32_e32 v36, 3, v36
	ds_write2_b64 v36, v[44:45], v[46:47] offset1:2
.LBB0_33:
	s_or_b64 exec, exec, s[4:5]
	v_add_u32_e32 v40, 0x1200, v73
	s_waitcnt lgkmcnt(0)
	s_barrier
	ds_read2_b64 v[36:39], v73 offset1:176
	ds_read2_b64 v[40:43], v40 offset0:40 offset1:216
	ds_read_b64 v[48:49], v73 offset:2816
	ds_read_b64 v[69:70], v73 offset:7744
	s_and_saveexec_b64 s[4:5], s[0:1]
	s_cbranch_execz .LBB0_35
; %bb.34:
	ds_read_b64 v[44:45], v73 offset:4224
	ds_read_b64 v[46:47], v73 offset:9152
.LBB0_35:
	s_or_b64 exec, exec, s[4:5]
	s_waitcnt lgkmcnt(2)
	v_mul_f32_e32 v71, v51, v41
	v_fmac_f32_e32 v71, v50, v40
	v_mul_f32_e32 v40, v51, v40
	v_fma_f32 v41, v50, v41, -v40
	v_mul_f32_e32 v40, v51, v42
	v_mul_f32_e32 v72, v51, v43
	v_fma_f32 v43, v50, v43, -v40
	s_waitcnt lgkmcnt(0)
	v_mul_f32_e32 v79, v51, v70
	v_mul_f32_e32 v40, v51, v69
	v_fmac_f32_e32 v79, v50, v69
	v_fma_f32 v69, v50, v70, -v40
	v_mul_f32_e32 v70, v51, v47
	v_mul_f32_e32 v40, v51, v46
	v_fmac_f32_e32 v70, v50, v46
	v_fma_f32 v47, v50, v47, -v40
	v_fmac_f32_e32 v72, v50, v42
	v_sub_f32_e32 v40, v36, v71
	v_sub_f32_e32 v41, v37, v41
	;; [unrolled: 1-line block ×4, first 2 shown]
	v_fma_f32 v36, v36, 2.0, -v40
	v_fma_f32 v37, v37, 2.0, -v41
	v_sub_f32_e32 v42, v38, v72
	v_sub_f32_e32 v43, v39, v43
	v_sub_f32_e32 v50, v48, v79
	v_sub_f32_e32 v51, v49, v69
	v_fma_f32 v44, v44, 2.0, -v46
	v_fma_f32 v45, v45, 2.0, -v47
	;; [unrolled: 1-line block ×6, first 2 shown]
	s_barrier
	ds_write2_b64 v91, v[36:37], v[40:41] offset1:4
	ds_write2_b64 v90, v[38:39], v[42:43] offset1:4
	;; [unrolled: 1-line block ×3, first 2 shown]
	s_and_saveexec_b64 s[4:5], s[0:1]
	s_cbranch_execz .LBB0_37
; %bb.36:
	s_movk_i32 s6, 0x5f8
	v_and_or_b32 v36, v78, s6, v82
	v_lshlrev_b32_e32 v36, 3, v36
	ds_write2_b64 v36, v[44:45], v[46:47] offset1:4
.LBB0_37:
	s_or_b64 exec, exec, s[4:5]
	v_add_u32_e32 v36, 0x1200, v73
	s_waitcnt lgkmcnt(0)
	s_barrier
	ds_read2_b64 v[40:43], v73 offset1:176
	ds_read2_b64 v[36:39], v36 offset0:40 offset1:216
	ds_read_b64 v[69:70], v73 offset:2816
	ds_read_b64 v[48:49], v73 offset:7744
	s_and_saveexec_b64 s[4:5], s[0:1]
	s_cbranch_execz .LBB0_39
; %bb.38:
	ds_read_b64 v[44:45], v73 offset:4224
	ds_read_b64 v[46:47], v73 offset:9152
.LBB0_39:
	s_or_b64 exec, exec, s[4:5]
	s_waitcnt lgkmcnt(2)
	v_mul_f32_e32 v50, v66, v37
	v_fmac_f32_e32 v50, v65, v36
	v_mul_f32_e32 v36, v66, v36
	v_fma_f32 v36, v65, v37, -v36
	v_mul_f32_e32 v37, v66, v38
	v_mul_f32_e32 v51, v66, v39
	v_fma_f32 v71, v65, v39, -v37
	s_waitcnt lgkmcnt(0)
	v_mul_f32_e32 v37, v66, v48
	v_fmac_f32_e32 v51, v65, v38
	v_mul_f32_e32 v72, v66, v49
	v_fma_f32 v79, v65, v49, -v37
	v_mul_f32_e32 v80, v66, v47
	v_mul_f32_e32 v37, v66, v46
	v_fmac_f32_e32 v72, v65, v48
	v_fmac_f32_e32 v80, v65, v46
	v_fma_f32 v47, v65, v47, -v37
	v_sub_f32_e32 v38, v40, v50
	v_sub_f32_e32 v50, v42, v51
	v_sub_f32_e32 v51, v43, v71
	v_sub_f32_e32 v39, v41, v36
	v_fma_f32 v48, v42, 2.0, -v50
	v_fma_f32 v49, v43, 2.0, -v51
	v_sub_f32_e32 v42, v69, v72
	v_sub_f32_e32 v43, v70, v79
	;; [unrolled: 1-line block ×4, first 2 shown]
	v_fma_f32 v36, v40, 2.0, -v38
	v_fma_f32 v37, v41, 2.0, -v39
	;; [unrolled: 1-line block ×6, first 2 shown]
	s_barrier
	ds_write2_b64 v92, v[36:37], v[38:39] offset1:8
	ds_write2_b64 v93, v[48:49], v[50:51] offset1:8
	;; [unrolled: 1-line block ×3, first 2 shown]
	s_and_saveexec_b64 s[4:5], s[0:1]
	s_cbranch_execz .LBB0_41
; %bb.40:
	s_movk_i32 s6, 0x5f0
	v_and_or_b32 v65, v78, s6, v86
	v_lshlrev_b32_e32 v65, 3, v65
	ds_write2_b64 v65, v[44:45], v[46:47] offset1:8
.LBB0_41:
	s_or_b64 exec, exec, s[4:5]
	s_waitcnt lgkmcnt(0)
	s_barrier
	s_and_saveexec_b64 s[4:5], s[2:3]
	s_cbranch_execz .LBB0_43
; %bb.42:
	v_add_u32_e32 v32, 0x400, v73
	ds_read2_b64 v[48:51], v32 offset0:96 offset1:208
	v_add_u32_e32 v32, 0xc00, v73
	ds_read2_b64 v[40:43], v32 offset0:64 offset1:176
	;; [unrolled: 2-line block ×3, first 2 shown]
	v_add_u32_e32 v32, 0x1800, v73
	ds_read2_b64 v[36:39], v73 offset1:112
	ds_read2_b64 v[32:35], v32 offset0:128 offset1:240
	ds_read_b64 v[67:68], v73 offset:8960
.LBB0_43:
	s_or_b64 exec, exec, s[4:5]
	s_waitcnt lgkmcnt(0)
	s_barrier
	s_and_saveexec_b64 s[4:5], s[2:3]
	s_cbranch_execz .LBB0_45
; %bb.44:
	v_mul_f32_e32 v65, v13, v39
	v_mul_f32_e32 v66, v19, v68
	;; [unrolled: 1-line block ×3, first 2 shown]
	v_fmac_f32_e32 v65, v12, v38
	v_fmac_f32_e32 v66, v18, v67
	v_fma_f32 v12, v12, v39, -v13
	v_mul_f32_e32 v38, v15, v49
	v_mul_f32_e32 v39, v17, v35
	v_sub_f32_e32 v69, v65, v66
	v_mul_f32_e32 v19, v19, v67
	v_fmac_f32_e32 v38, v14, v48
	v_fmac_f32_e32 v39, v16, v34
	v_mul_f32_e32 v70, 0xbe903f40, v69
	v_fma_f32 v18, v18, v68, -v19
	v_sub_f32_e32 v67, v38, v39
	v_mul_f32_e32 v17, v17, v34
	v_mul_f32_e32 v15, v15, v48
	v_add_f32_e32 v13, v18, v12
	v_mov_b32_e32 v19, v70
	v_mul_f32_e32 v68, 0x3f0a6770, v67
	v_fma_f32 v16, v16, v35, -v17
	v_fma_f32 v14, v14, v49, -v15
	v_fmac_f32_e32 v19, 0xbf75a155, v13
	v_add_f32_e32 v15, v16, v14
	v_mov_b32_e32 v17, v68
	v_add_f32_e32 v19, v37, v19
	v_fmac_f32_e32 v17, 0x3f575c64, v15
	v_add_f32_e32 v17, v17, v19
	v_mul_f32_e32 v19, v5, v51
	v_mul_f32_e32 v34, v11, v33
	v_fmac_f32_e32 v19, v4, v50
	v_fmac_f32_e32 v34, v10, v32
	v_sub_f32_e32 v35, v19, v34
	v_mul_f32_e32 v11, v11, v32
	v_mul_f32_e32 v5, v5, v50
	;; [unrolled: 1-line block ×3, first 2 shown]
	v_fma_f32 v32, v10, v33, -v11
	v_fma_f32 v33, v4, v51, -v5
	v_add_f32_e32 v10, v32, v33
	v_mov_b32_e32 v4, v48
	v_fmac_f32_e32 v4, 0xbf27a4f4, v10
	v_add_f32_e32 v4, v4, v17
	v_mul_f32_e32 v17, v7, v41
	v_mul_f32_e32 v49, v9, v47
	v_fmac_f32_e32 v17, v6, v40
	v_fmac_f32_e32 v49, v8, v46
	v_sub_f32_e32 v50, v17, v49
	v_mul_f32_e32 v9, v9, v46
	v_mul_f32_e32 v7, v7, v40
	;; [unrolled: 1-line block ×3, first 2 shown]
	v_fma_f32 v46, v8, v47, -v9
	v_fma_f32 v40, v6, v41, -v7
	v_mul_f32_e32 v41, v1, v43
	v_mul_f32_e32 v47, v3, v45
	v_add_f32_e32 v11, v46, v40
	v_mov_b32_e32 v6, v5
	v_fmac_f32_e32 v41, v0, v42
	v_fmac_f32_e32 v47, v2, v44
	;; [unrolled: 1-line block ×3, first 2 shown]
	v_sub_f32_e32 v51, v41, v47
	v_mul_f32_e32 v3, v3, v44
	v_mul_f32_e32 v1, v1, v42
	v_add_f32_e32 v4, v6, v4
	v_mul_f32_e32 v6, 0xbf7d64f0, v51
	v_fma_f32 v44, v2, v45, -v3
	v_fma_f32 v42, v0, v43, -v1
	v_add_f32_e32 v43, v44, v42
	v_mov_b32_e32 v0, v6
	v_sub_f32_e32 v71, v12, v18
	s_mov_b32 s2, 0xbf75a155
	v_fmac_f32_e32 v0, 0xbe11bafb, v43
	v_add_f32_e32 v45, v66, v65
	v_mul_f32_e32 v2, 0xbe903f40, v71
	v_sub_f32_e32 v78, v14, v16
	s_mov_b32 s3, 0x3f575c64
	v_add_f32_e32 v1, v0, v4
	v_fma_f32 v0, v45, s2, -v2
	v_add_f32_e32 v72, v39, v38
	v_mul_f32_e32 v4, 0x3f0a6770, v78
	v_sub_f32_e32 v80, v33, v32
	s_mov_b32 s6, 0xbf27a4f4
	v_add_f32_e32 v0, v36, v0
	v_fma_f32 v3, v72, s3, -v4
	;; [unrolled: 6-line block ×4, first 2 shown]
	v_add_f32_e32 v83, v47, v41
	v_mul_f32_e32 v9, 0xbf7d64f0, v84
	v_add_f32_e32 v0, v3, v0
	v_fma_f32 v3, v83, s14, -v9
	v_add_f32_e32 v0, v3, v0
	v_fma_f32 v3, v13, s2, -v70
	;; [unrolled: 2-line block ×4, first 2 shown]
	v_fmac_f32_e32 v2, 0xbf75a155, v45
	v_add_f32_e32 v3, v48, v3
	v_fma_f32 v5, v11, s7, -v5
	v_add_f32_e32 v2, v36, v2
	v_fmac_f32_e32 v4, 0x3f575c64, v72
	v_mul_f32_e32 v48, 0xbf27a4f4, v13
	v_add_f32_e32 v3, v5, v3
	v_fma_f32 v5, v43, s14, -v6
	v_add_f32_e32 v2, v4, v2
	v_mov_b32_e32 v4, v48
	v_mul_f32_e32 v68, 0xbe11bafb, v15
	v_add_f32_e32 v3, v5, v3
	v_fmac_f32_e32 v4, 0x3f4178ce, v69
	v_mov_b32_e32 v5, v68
	v_add_f32_e32 v4, v37, v4
	v_fmac_f32_e32 v5, 0xbf7d64f0, v67
	v_mul_f32_e32 v70, 0x3f575c64, v10
	v_add_f32_e32 v4, v5, v4
	v_mov_b32_e32 v5, v70
	v_fmac_f32_e32 v5, 0x3f0a6770, v35
	v_mul_f32_e32 v85, 0xbf75a155, v11
	v_add_f32_e32 v4, v5, v4
	v_mov_b32_e32 v5, v85
	;; [unrolled: 4-line block ×4, first 2 shown]
	v_mul_f32_e32 v88, 0x3f7d64f0, v78
	v_fmac_f32_e32 v4, 0xbf27a4f4, v45
	v_mov_b32_e32 v6, v88
	v_add_f32_e32 v4, v36, v4
	v_fmac_f32_e32 v6, 0xbe11bafb, v72
	v_mul_f32_e32 v89, 0xbf0a6770, v80
	v_add_f32_e32 v4, v6, v4
	v_mov_b32_e32 v6, v89
	v_fmac_f32_e32 v6, 0x3f575c64, v79
	v_mul_f32_e32 v90, 0xbe903f40, v82
	v_add_f32_e32 v4, v6, v4
	v_mov_b32_e32 v6, v90
	v_fmac_f32_e32 v6, 0xbf75a155, v81
	v_mul_f32_e32 v91, 0x3f68dda4, v84
	v_add_f32_e32 v4, v6, v4
	v_mov_b32_e32 v6, v91
	v_fmac_f32_e32 v6, 0x3ed4b147, v83
	v_mul_f32_e32 v92, 0xbe11bafb, v13
	v_fmac_f32_e32 v7, 0xbf27a4f4, v79
	v_add_f32_e32 v4, v6, v4
	v_mov_b32_e32 v6, v92
	v_mul_f32_e32 v93, 0xbf75a155, v15
	v_add_f32_e32 v2, v7, v2
	v_fmac_f32_e32 v6, 0x3f7d64f0, v69
	v_mov_b32_e32 v7, v93
	v_add_f32_e32 v6, v37, v6
	v_fmac_f32_e32 v7, 0xbe903f40, v67
	v_mul_f32_e32 v94, 0x3ed4b147, v10
	v_add_f32_e32 v6, v7, v6
	v_mov_b32_e32 v7, v94
	v_fmac_f32_e32 v7, 0xbf68dda4, v35
	v_mul_f32_e32 v96, 0x3f575c64, v11
	v_add_f32_e32 v6, v7, v6
	v_mov_b32_e32 v7, v96
	v_fmac_f32_e32 v7, 0x3f0a6770, v50
	v_mul_f32_e32 v97, 0xbf27a4f4, v43
	v_add_f32_e32 v6, v7, v6
	v_mov_b32_e32 v7, v97
	v_fmac_f32_e32 v7, 0x3f4178ce, v51
	v_mul_f32_e32 v98, 0xbf7d64f0, v71
	v_fmac_f32_e32 v8, 0x3ed4b147, v81
	v_add_f32_e32 v7, v7, v6
	v_mov_b32_e32 v6, v98
	v_mul_f32_e32 v99, 0x3e903f40, v78
	v_add_f32_e32 v2, v8, v2
	;; [unrolled: 22-line block ×3, first 2 shown]
	v_fmac_f32_e32 v8, 0x3f68dda4, v69
	v_mov_b32_e32 v9, v104
	v_add_f32_e32 v8, v37, v8
	v_fmac_f32_e32 v9, 0x3f4178ce, v67
	v_mul_f32_e32 v105, 0xbf75a155, v10
	v_add_f32_e32 v8, v9, v8
	v_mov_b32_e32 v9, v105
	v_fmac_f32_e32 v9, 0xbe903f40, v35
	v_mul_f32_e32 v106, 0xbe11bafb, v11
	v_add_f32_e32 v8, v9, v8
	v_mov_b32_e32 v9, v106
	;; [unrolled: 4-line block ×4, first 2 shown]
	v_mul_f32_e32 v109, 0xbf4178ce, v78
	v_fmac_f32_e32 v8, 0x3ed4b147, v45
	v_mov_b32_e32 v110, v109
	v_add_f32_e32 v8, v36, v8
	v_fmac_f32_e32 v110, 0xbf27a4f4, v72
	v_add_f32_e32 v8, v110, v8
	v_mul_f32_e32 v110, 0x3e903f40, v80
	v_mov_b32_e32 v111, v110
	v_fmac_f32_e32 v111, 0xbf75a155, v79
	v_add_f32_e32 v8, v111, v8
	v_mul_f32_e32 v111, 0x3f7d64f0, v82
	v_mov_b32_e32 v112, v111
	;; [unrolled: 4-line block ×4, first 2 shown]
	v_mul_f32_e32 v114, 0x3ed4b147, v15
	v_fmac_f32_e32 v13, 0x3f0a6770, v69
	v_mov_b32_e32 v15, v114
	v_mul_f32_e32 v115, 0xbe11bafb, v10
	v_add_f32_e32 v13, v37, v13
	v_fmac_f32_e32 v15, 0x3f68dda4, v67
	v_mov_b32_e32 v10, v115
	v_mul_f32_e32 v116, 0xbf27a4f4, v11
	v_add_f32_e32 v13, v15, v13
	v_fmac_f32_e32 v10, 0x3f7d64f0, v35
	v_mov_b32_e32 v11, v116
	v_add_f32_e32 v12, v12, v37
	v_add_f32_e32 v10, v10, v13
	v_fmac_f32_e32 v11, 0x3f4178ce, v50
	v_mul_f32_e32 v43, 0xbf75a155, v43
	v_add_f32_e32 v12, v14, v12
	v_add_f32_e32 v10, v11, v10
	v_mov_b32_e32 v11, v43
	v_add_f32_e32 v12, v33, v12
	v_fmac_f32_e32 v48, 0xbf4178ce, v69
	v_fmac_f32_e32 v11, 0x3e903f40, v51
	v_mul_f32_e32 v71, 0xbf0a6770, v71
	v_add_f32_e32 v12, v40, v12
	v_add_f32_e32 v14, v37, v48
	v_fmac_f32_e32 v68, 0x3f7d64f0, v67
	v_add_f32_e32 v11, v11, v10
	v_mov_b32_e32 v10, v71
	v_mul_f32_e32 v78, 0xbf68dda4, v78
	v_add_f32_e32 v12, v42, v12
	v_add_f32_e32 v14, v68, v14
	v_fmac_f32_e32 v70, 0xbf0a6770, v35
	v_fmac_f32_e32 v10, 0x3f575c64, v45
	v_mov_b32_e32 v13, v78
	v_add_f32_e32 v12, v44, v12
	v_add_f32_e32 v14, v70, v14
	v_fmac_f32_e32 v85, 0xbe903f40, v50
	v_add_f32_e32 v10, v36, v10
	v_fmac_f32_e32 v13, 0x3ed4b147, v72
	v_mul_f32_e32 v80, 0xbf7d64f0, v80
	v_add_f32_e32 v12, v46, v12
	v_add_f32_e32 v14, v85, v14
	v_fmac_f32_e32 v86, 0x3f68dda4, v51
	v_add_f32_e32 v10, v13, v10
	v_mov_b32_e32 v13, v80
	v_add_f32_e32 v12, v32, v12
	v_add_f32_e32 v15, v86, v14
	v_fma_f32 v14, v45, s6, -v87
	v_fmac_f32_e32 v13, 0xbe11bafb, v79
	v_mul_f32_e32 v82, 0xbf4178ce, v82
	v_add_f32_e32 v12, v16, v12
	v_add_f32_e32 v14, v36, v14
	v_fma_f32 v16, v72, s14, -v88
	v_add_f32_e32 v10, v13, v10
	v_mov_b32_e32 v13, v82
	v_add_f32_e32 v14, v16, v14
	v_fma_f32 v16, v79, s3, -v89
	v_fmac_f32_e32 v13, 0xbf27a4f4, v81
	v_mul_f32_e32 v84, 0xbe903f40, v84
	v_add_f32_e32 v14, v16, v14
	v_fma_f32 v16, v81, s2, -v90
	v_add_f32_e32 v10, v13, v10
	v_mov_b32_e32 v13, v84
	v_add_f32_e32 v14, v16, v14
	v_fma_f32 v16, v83, s7, -v91
	v_fmac_f32_e32 v92, 0xbf7d64f0, v69
	v_fmac_f32_e32 v13, 0xbf75a155, v83
	v_add_f32_e32 v14, v16, v14
	v_add_f32_e32 v16, v37, v92
	v_fmac_f32_e32 v93, 0x3e903f40, v67
	v_add_f32_e32 v10, v13, v10
	v_add_f32_e32 v13, v18, v12
	;; [unrolled: 1-line block ×4, first 2 shown]
	v_fmac_f32_e32 v94, 0x3f68dda4, v35
	v_add_f32_e32 v12, v38, v12
	v_add_f32_e32 v16, v94, v16
	v_fmac_f32_e32 v96, 0xbf0a6770, v50
	v_add_f32_e32 v12, v19, v12
	v_add_f32_e32 v16, v96, v16
	;; [unrolled: 3-line block ×3, first 2 shown]
	v_fma_f32 v16, v45, s14, -v98
	v_add_f32_e32 v16, v36, v16
	v_fma_f32 v18, v72, s2, -v99
	v_add_f32_e32 v16, v18, v16
	;; [unrolled: 2-line block ×4, first 2 shown]
	v_fma_f32 v18, v83, s6, -v102
	v_fmac_f32_e32 v103, 0xbf68dda4, v69
	v_add_f32_e32 v16, v18, v16
	v_add_f32_e32 v18, v37, v103
	v_fmac_f32_e32 v104, 0xbf4178ce, v67
	v_add_f32_e32 v18, v104, v18
	v_fmac_f32_e32 v105, 0x3e903f40, v35
	;; [unrolled: 2-line block ×4, first 2 shown]
	v_add_f32_e32 v19, v107, v18
	v_fma_f32 v18, v45, s7, -v108
	v_add_f32_e32 v18, v36, v18
	v_fma_f32 v32, v72, s6, -v109
	v_add_f32_e32 v18, v32, v18
	v_fma_f32 v32, v79, s2, -v110
	v_add_f32_e32 v18, v32, v18
	v_fma_f32 v32, v81, s14, -v111
	v_add_f32_e32 v18, v32, v18
	v_fma_f32 v32, v83, s3, -v112
	v_fmac_f32_e32 v113, 0xbf0a6770, v69
	v_add_f32_e32 v18, v32, v18
	v_add_f32_e32 v32, v37, v113
	v_fmac_f32_e32 v114, 0xbf68dda4, v67
	v_add_f32_e32 v32, v114, v32
	v_fmac_f32_e32 v115, 0xbf7d64f0, v35
	v_add_f32_e32 v12, v41, v12
	v_add_f32_e32 v32, v115, v32
	v_fmac_f32_e32 v116, 0xbf4178ce, v50
	v_add_f32_e32 v12, v47, v12
	;; [unrolled: 3-line block ×3, first 2 shown]
	v_add_f32_e32 v33, v43, v32
	v_fma_f32 v32, v45, s3, -v71
	v_add_f32_e32 v12, v34, v12
	v_add_f32_e32 v32, v36, v32
	v_fma_f32 v34, v72, s7, -v78
	v_add_f32_e32 v32, v34, v32
	v_fma_f32 v34, v79, s14, -v80
	;; [unrolled: 2-line block ×4, first 2 shown]
	v_add_f32_e32 v32, v34, v32
	v_mul_u32_u24_e32 v34, 0xb0, v95
	v_add_f32_e32 v12, v39, v12
	v_or_b32_e32 v34, v34, v77
	v_add_f32_e32 v12, v66, v12
	v_lshlrev_b32_e32 v34, 3, v34
	ds_write2_b64 v34, v[12:13], v[10:11] offset1:16
	ds_write2_b64 v34, v[8:9], v[6:7] offset0:32 offset1:48
	ds_write2_b64 v34, v[4:5], v[2:3] offset0:64 offset1:80
	;; [unrolled: 1-line block ×4, first 2 shown]
	ds_write_b64 v34, v[32:33] offset:1280
.LBB0_45:
	s_or_b64 exec, exec, s[4:5]
	s_waitcnt lgkmcnt(0)
	s_barrier
	ds_read2_b64 v[0:3], v73 offset1:176
	v_add_u32_e32 v14, 0xa00, v73
	ds_read2_b64 v[4:7], v14 offset0:32 offset1:208
	v_add_u32_e32 v15, 0x1400, v73
	ds_read2_b64 v[8:11], v15 offset0:64 offset1:240
	ds_read_b64 v[12:13], v73 offset:8448
	s_waitcnt lgkmcnt(3)
	v_mul_f32_e32 v16, v29, v3
	v_fmac_f32_e32 v16, v28, v2
	v_mul_f32_e32 v2, v29, v2
	v_fma_f32 v2, v28, v3, -v2
	s_waitcnt lgkmcnt(2)
	v_mul_f32_e32 v3, v31, v5
	v_fmac_f32_e32 v3, v30, v4
	v_mul_f32_e32 v4, v31, v4
	v_fma_f32 v4, v30, v5, -v4
	v_mul_f32_e32 v5, v25, v7
	v_fmac_f32_e32 v5, v24, v6
	v_mul_f32_e32 v6, v25, v6
	v_fma_f32 v6, v24, v7, -v6
	s_waitcnt lgkmcnt(1)
	v_mul_f32_e32 v7, v27, v9
	v_fmac_f32_e32 v7, v26, v8
	v_mul_f32_e32 v8, v27, v8
	v_fma_f32 v8, v26, v9, -v8
	;; [unrolled: 9-line block ×3, first 2 shown]
	v_add_f32_e32 v13, v16, v11
	v_add_f32_e32 v17, v2, v12
	v_sub_f32_e32 v2, v2, v12
	v_add_f32_e32 v12, v3, v9
	v_sub_f32_e32 v11, v16, v11
	;; [unrolled: 2-line block ×6, first 2 shown]
	v_add_f32_e32 v8, v16, v17
	v_add_f32_e32 v7, v9, v7
	;; [unrolled: 1-line block ×4, first 2 shown]
	v_sub_f32_e32 v18, v12, v13
	v_sub_f32_e32 v19, v16, v17
	;; [unrolled: 1-line block ×6, first 2 shown]
	v_add_f32_e32 v20, v5, v3
	v_add_f32_e32 v1, v1, v8
	v_mov_b32_e32 v24, v0
	v_add_f32_e32 v21, v6, v4
	v_sub_f32_e32 v22, v5, v3
	v_sub_f32_e32 v23, v6, v4
	;; [unrolled: 1-line block ×4, first 2 shown]
	v_add_f32_e32 v9, v20, v11
	v_mul_f32_e32 v10, 0x3f4a47b2, v13
	v_mul_f32_e32 v11, 0x3f4a47b2, v17
	;; [unrolled: 1-line block ×4, first 2 shown]
	v_fmac_f32_e32 v24, 0xbf955555, v7
	v_mov_b32_e32 v7, v1
	s_mov_b32 s3, 0x3f3bfb3b
	v_sub_f32_e32 v6, v2, v6
	v_sub_f32_e32 v4, v4, v2
	v_add_f32_e32 v2, v21, v2
	v_mul_f32_e32 v20, 0x3f08b237, v22
	v_mul_f32_e32 v21, 0x3f08b237, v23
	s_mov_b32 s2, 0xbf5ff5aa
	v_fmac_f32_e32 v7, 0xbf955555, v8
	v_fma_f32 v8, v18, s3, -v13
	v_fma_f32 v13, v19, s3, -v17
	s_mov_b32 s3, 0xbf3bfb3b
	v_mul_f32_e32 v22, 0xbf5ff5aa, v3
	v_mul_f32_e32 v23, 0xbf5ff5aa, v4
	v_fma_f32 v17, v18, s3, -v10
	v_fmac_f32_e32 v10, 0x3d64c772, v12
	v_fma_f32 v12, v19, s3, -v11
	v_fmac_f32_e32 v11, 0x3d64c772, v16
	;; [unrolled: 2-line block ×4, first 2 shown]
	s_mov_b32 s2, 0x3eae86e6
	v_fma_f32 v19, v5, s2, -v22
	v_fma_f32 v22, v6, s2, -v23
	v_add_f32_e32 v23, v10, v24
	v_add_f32_e32 v25, v11, v7
	v_fmac_f32_e32 v20, 0xbee1c552, v9
	v_fmac_f32_e32 v21, 0xbee1c552, v2
	v_add_f32_e32 v8, v8, v24
	v_add_f32_e32 v10, v13, v7
	;; [unrolled: 1-line block ×4, first 2 shown]
	v_fmac_f32_e32 v16, 0xbee1c552, v9
	v_fmac_f32_e32 v18, 0xbee1c552, v2
	;; [unrolled: 1-line block ×4, first 2 shown]
	v_add_f32_e32 v2, v21, v23
	v_sub_f32_e32 v3, v25, v20
	v_add_f32_e32 v4, v22, v11
	v_sub_f32_e32 v5, v12, v19
	v_sub_f32_e32 v6, v8, v18
	v_add_f32_e32 v7, v16, v10
	v_add_f32_e32 v8, v18, v8
	v_sub_f32_e32 v9, v10, v16
	v_sub_f32_e32 v10, v11, v22
	v_add_f32_e32 v11, v19, v12
	v_sub_f32_e32 v12, v23, v21
	v_add_f32_e32 v13, v20, v25
	ds_write2_b64 v73, v[0:1], v[2:3] offset1:176
	ds_write2_b64 v14, v[4:5], v[6:7] offset0:32 offset1:208
	ds_write2_b64 v15, v[8:9], v[10:11] offset0:64 offset1:240
	ds_write_b64 v73, v[12:13] offset:8448
	s_waitcnt lgkmcnt(0)
	s_barrier
	ds_read2_b64 v[0:3], v73 offset1:176
	v_mad_u64_u32 v[8:9], s[2:3], s10, v56, 0
	s_mov_b32 s2, 0x606a63be
	s_mov_b32 s3, 0x3f4a98ef
	s_waitcnt lgkmcnt(0)
	v_mul_f32_e32 v4, v64, v1
	v_fmac_f32_e32 v4, v63, v0
	v_cvt_f64_f32_e32 v[4:5], v4
	v_mul_f32_e32 v0, v64, v0
	v_fma_f32 v0, v63, v1, -v0
	v_cvt_f64_f32_e32 v[0:1], v0
	v_mul_f64 v[4:5], v[4:5], s[2:3]
	v_mad_u64_u32 v[10:11], s[4:5], s8, v76, 0
	v_mov_b32_e32 v6, v9
	v_mad_u64_u32 v[6:7], s[4:5], s11, v56, v[6:7]
	v_mul_f64 v[0:1], v[0:1], s[2:3]
	s_mul_hi_u32 s7, s8, 0xfffffe48
	v_cvt_f32_f64_e32 v12, v[4:5]
	v_mov_b32_e32 v4, v11
	v_mad_u64_u32 v[14:15], s[4:5], s9, v76, v[4:5]
	v_add_u32_e32 v4, 0x1200, v73
	v_mov_b32_e32 v9, v6
	ds_read2_b64 v[4:7], v4 offset0:40 offset1:216
	v_cvt_f32_f64_e32 v13, v[0:1]
	v_lshlrev_b64 v[0:1], 3, v[8:9]
	v_mov_b32_e32 v11, v14
	v_mov_b32_e32 v14, s13
	s_waitcnt lgkmcnt(0)
	v_mul_f32_e32 v8, v62, v5
	v_fmac_f32_e32 v8, v61, v4
	v_mul_f32_e32 v4, v62, v4
	v_fma_f32 v4, v61, v5, -v4
	v_cvt_f64_f32_e32 v[8:9], v8
	v_cvt_f64_f32_e32 v[4:5], v4
	v_add_co_u32_e32 v15, vcc, s12, v0
	v_addc_co_u32_e32 v14, vcc, v14, v1, vcc
	v_mul_f64 v[0:1], v[8:9], s[2:3]
	v_mul_f64 v[4:5], v[4:5], s[2:3]
	v_lshlrev_b64 v[8:9], 3, v[10:11]
	s_mul_i32 s4, s9, 0x268
	s_mul_hi_u32 s5, s8, 0x268
	v_add_co_u32_e32 v8, vcc, v15, v8
	s_add_i32 s5, s5, s4
	v_cvt_f32_f64_e32 v0, v[0:1]
	v_cvt_f32_f64_e32 v1, v[4:5]
	v_mul_f32_e32 v4, v60, v3
	v_fmac_f32_e32 v4, v59, v2
	v_mul_f32_e32 v2, v60, v2
	v_fma_f32 v2, v59, v3, -v2
	v_cvt_f64_f32_e32 v[4:5], v4
	v_cvt_f64_f32_e32 v[2:3], v2
	s_mul_i32 s4, s8, 0x268
	v_addc_co_u32_e32 v9, vcc, v14, v9, vcc
	v_mul_f64 v[4:5], v[4:5], s[2:3]
	v_mul_f64 v[2:3], v[2:3], s[2:3]
	s_lshl_b64 s[4:5], s[4:5], 3
	global_store_dwordx2 v[8:9], v[12:13], off
	v_mov_b32_e32 v12, s5
	v_add_co_u32_e32 v8, vcc, s4, v8
	v_addc_co_u32_e32 v9, vcc, v9, v12, vcc
	global_store_dwordx2 v[8:9], v[0:1], off
	v_cvt_f32_f64_e32 v0, v[4:5]
	v_cvt_f32_f64_e32 v1, v[2:3]
	v_mul_f32_e32 v2, v58, v7
	v_mul_f32_e32 v4, v58, v6
	v_fmac_f32_e32 v2, v57, v6
	v_fma_f32 v4, v57, v7, -v4
	v_cvt_f64_f32_e32 v[2:3], v2
	v_cvt_f64_f32_e32 v[4:5], v4
	s_mul_i32 s6, s9, 0xfffffe48
	s_sub_i32 s7, s7, s8
	s_add_i32 s7, s7, s6
	s_mul_i32 s6, s8, 0xfffffe48
	v_mul_f64 v[2:3], v[2:3], s[2:3]
	v_mul_f64 v[4:5], v[4:5], s[2:3]
	s_lshl_b64 s[6:7], s[6:7], 3
	v_mov_b32_e32 v13, s7
	v_add_co_u32_e32 v6, vcc, s6, v8
	v_addc_co_u32_e32 v7, vcc, v9, v13, vcc
	ds_read_b64 v[8:9], v73 offset:2816
	global_store_dwordx2 v[6:7], v[0:1], off
	v_cvt_f32_f64_e32 v0, v[2:3]
	ds_read_b64 v[2:3], v73 offset:7744
	v_cvt_f32_f64_e32 v1, v[4:5]
	s_waitcnt lgkmcnt(1)
	v_mul_f32_e32 v4, v53, v9
	v_fmac_f32_e32 v4, v52, v8
	v_cvt_f64_f32_e32 v[4:5], v4
	v_mul_f32_e32 v8, v53, v8
	v_fma_f32 v8, v52, v9, -v8
	s_waitcnt lgkmcnt(0)
	v_mul_f32_e32 v10, v55, v3
	v_mul_f64 v[4:5], v[4:5], s[2:3]
	v_cvt_f64_f32_e32 v[8:9], v8
	v_fmac_f32_e32 v10, v54, v2
	v_mul_f32_e32 v2, v55, v2
	v_fma_f32 v2, v54, v3, -v2
	v_cvt_f64_f32_e32 v[10:11], v10
	v_cvt_f64_f32_e32 v[2:3], v2
	v_add_co_u32_e32 v6, vcc, s4, v6
	v_mul_f64 v[8:9], v[8:9], s[2:3]
	v_addc_co_u32_e32 v7, vcc, v7, v12, vcc
	global_store_dwordx2 v[6:7], v[0:1], off
	v_cvt_f32_f64_e32 v0, v[4:5]
	v_mul_f64 v[4:5], v[10:11], s[2:3]
	v_mul_f64 v[2:3], v[2:3], s[2:3]
	v_add_co_u32_e32 v6, vcc, s6, v6
	v_cvt_f32_f64_e32 v1, v[8:9]
	v_addc_co_u32_e32 v7, vcc, v7, v13, vcc
	v_cvt_f32_f64_e32 v4, v[4:5]
	v_cvt_f32_f64_e32 v5, v[2:3]
	global_store_dwordx2 v[6:7], v[0:1], off
	v_add_co_u32_e32 v0, vcc, s4, v6
	v_addc_co_u32_e32 v1, vcc, v7, v12, vcc
	global_store_dwordx2 v[0:1], v[4:5], off
	s_and_b64 exec, exec, s[0:1]
	s_cbranch_execz .LBB0_47
; %bb.46:
	v_add_co_u32_e32 v2, vcc, 0x1000, v74
	v_addc_co_u32_e32 v3, vcc, 0, v75, vcc
	s_movk_i32 s0, 0x2000
	v_add_co_u32_e32 v4, vcc, s0, v74
	global_load_dwordx2 v[2:3], v[2:3], off offset:128
	v_addc_co_u32_e32 v5, vcc, 0, v75, vcc
	global_load_dwordx2 v[4:5], v[4:5], off offset:960
	ds_read_b64 v[6:7], v73 offset:4224
	ds_read_b64 v[8:9], v73 offset:9152
	v_mov_b32_e32 v10, s7
	v_add_co_u32_e32 v0, vcc, s6, v0
	v_addc_co_u32_e32 v1, vcc, v1, v10, vcc
	v_mov_b32_e32 v11, s5
	s_waitcnt vmcnt(1) lgkmcnt(1)
	v_mul_f32_e32 v12, v7, v3
	v_mul_f32_e32 v3, v6, v3
	v_fmac_f32_e32 v12, v6, v2
	s_waitcnt vmcnt(0) lgkmcnt(0)
	v_mul_f32_e32 v13, v9, v5
	v_mul_f32_e32 v5, v8, v5
	v_fma_f32 v6, v2, v7, -v3
	v_fmac_f32_e32 v13, v8, v4
	v_fma_f32 v8, v4, v9, -v5
	v_cvt_f64_f32_e32 v[2:3], v12
	v_cvt_f64_f32_e32 v[4:5], v6
	;; [unrolled: 1-line block ×4, first 2 shown]
	v_mul_f64 v[2:3], v[2:3], s[2:3]
	v_mul_f64 v[4:5], v[4:5], s[2:3]
	;; [unrolled: 1-line block ×4, first 2 shown]
	v_cvt_f32_f64_e32 v2, v[2:3]
	v_cvt_f32_f64_e32 v3, v[4:5]
	;; [unrolled: 1-line block ×4, first 2 shown]
	v_add_co_u32_e32 v6, vcc, s4, v0
	v_addc_co_u32_e32 v7, vcc, v1, v11, vcc
	global_store_dwordx2 v[0:1], v[2:3], off
	global_store_dwordx2 v[6:7], v[4:5], off
.LBB0_47:
	s_endpgm
	.section	.rodata,"a",@progbits
	.p2align	6, 0x0
	.amdhsa_kernel bluestein_single_fwd_len1232_dim1_sp_op_CI_CI
		.amdhsa_group_segment_fixed_size 9856
		.amdhsa_private_segment_fixed_size 0
		.amdhsa_kernarg_size 104
		.amdhsa_user_sgpr_count 6
		.amdhsa_user_sgpr_private_segment_buffer 1
		.amdhsa_user_sgpr_dispatch_ptr 0
		.amdhsa_user_sgpr_queue_ptr 0
		.amdhsa_user_sgpr_kernarg_segment_ptr 1
		.amdhsa_user_sgpr_dispatch_id 0
		.amdhsa_user_sgpr_flat_scratch_init 0
		.amdhsa_user_sgpr_private_segment_size 0
		.amdhsa_uses_dynamic_stack 0
		.amdhsa_system_sgpr_private_segment_wavefront_offset 0
		.amdhsa_system_sgpr_workgroup_id_x 1
		.amdhsa_system_sgpr_workgroup_id_y 0
		.amdhsa_system_sgpr_workgroup_id_z 0
		.amdhsa_system_sgpr_workgroup_info 0
		.amdhsa_system_vgpr_workitem_id 0
		.amdhsa_next_free_vgpr 195
		.amdhsa_next_free_sgpr 22
		.amdhsa_reserve_vcc 1
		.amdhsa_reserve_flat_scratch 0
		.amdhsa_float_round_mode_32 0
		.amdhsa_float_round_mode_16_64 0
		.amdhsa_float_denorm_mode_32 3
		.amdhsa_float_denorm_mode_16_64 3
		.amdhsa_dx10_clamp 1
		.amdhsa_ieee_mode 1
		.amdhsa_fp16_overflow 0
		.amdhsa_exception_fp_ieee_invalid_op 0
		.amdhsa_exception_fp_denorm_src 0
		.amdhsa_exception_fp_ieee_div_zero 0
		.amdhsa_exception_fp_ieee_overflow 0
		.amdhsa_exception_fp_ieee_underflow 0
		.amdhsa_exception_fp_ieee_inexact 0
		.amdhsa_exception_int_div_zero 0
	.end_amdhsa_kernel
	.text
.Lfunc_end0:
	.size	bluestein_single_fwd_len1232_dim1_sp_op_CI_CI, .Lfunc_end0-bluestein_single_fwd_len1232_dim1_sp_op_CI_CI
                                        ; -- End function
	.section	.AMDGPU.csdata,"",@progbits
; Kernel info:
; codeLenInByte = 11076
; NumSgprs: 26
; NumVgprs: 195
; ScratchSize: 0
; MemoryBound: 0
; FloatMode: 240
; IeeeMode: 1
; LDSByteSize: 9856 bytes/workgroup (compile time only)
; SGPRBlocks: 3
; VGPRBlocks: 48
; NumSGPRsForWavesPerEU: 26
; NumVGPRsForWavesPerEU: 195
; Occupancy: 1
; WaveLimiterHint : 1
; COMPUTE_PGM_RSRC2:SCRATCH_EN: 0
; COMPUTE_PGM_RSRC2:USER_SGPR: 6
; COMPUTE_PGM_RSRC2:TRAP_HANDLER: 0
; COMPUTE_PGM_RSRC2:TGID_X_EN: 1
; COMPUTE_PGM_RSRC2:TGID_Y_EN: 0
; COMPUTE_PGM_RSRC2:TGID_Z_EN: 0
; COMPUTE_PGM_RSRC2:TIDIG_COMP_CNT: 0
	.type	__hip_cuid_33f78cbe61f9a831,@object ; @__hip_cuid_33f78cbe61f9a831
	.section	.bss,"aw",@nobits
	.globl	__hip_cuid_33f78cbe61f9a831
__hip_cuid_33f78cbe61f9a831:
	.byte	0                               ; 0x0
	.size	__hip_cuid_33f78cbe61f9a831, 1

	.ident	"AMD clang version 19.0.0git (https://github.com/RadeonOpenCompute/llvm-project roc-6.4.0 25133 c7fe45cf4b819c5991fe208aaa96edf142730f1d)"
	.section	".note.GNU-stack","",@progbits
	.addrsig
	.addrsig_sym __hip_cuid_33f78cbe61f9a831
	.amdgpu_metadata
---
amdhsa.kernels:
  - .args:
      - .actual_access:  read_only
        .address_space:  global
        .offset:         0
        .size:           8
        .value_kind:     global_buffer
      - .actual_access:  read_only
        .address_space:  global
        .offset:         8
        .size:           8
        .value_kind:     global_buffer
      - .actual_access:  read_only
        .address_space:  global
        .offset:         16
        .size:           8
        .value_kind:     global_buffer
      - .actual_access:  read_only
        .address_space:  global
        .offset:         24
        .size:           8
        .value_kind:     global_buffer
      - .actual_access:  read_only
        .address_space:  global
        .offset:         32
        .size:           8
        .value_kind:     global_buffer
      - .offset:         40
        .size:           8
        .value_kind:     by_value
      - .address_space:  global
        .offset:         48
        .size:           8
        .value_kind:     global_buffer
      - .address_space:  global
        .offset:         56
        .size:           8
        .value_kind:     global_buffer
      - .address_space:  global
        .offset:         64
        .size:           8
        .value_kind:     global_buffer
      - .address_space:  global
        .offset:         72
        .size:           8
        .value_kind:     global_buffer
      - .offset:         80
        .size:           4
        .value_kind:     by_value
      - .address_space:  global
        .offset:         88
        .size:           8
        .value_kind:     global_buffer
      - .address_space:  global
        .offset:         96
        .size:           8
        .value_kind:     global_buffer
    .group_segment_fixed_size: 9856
    .kernarg_segment_align: 8
    .kernarg_segment_size: 104
    .language:       OpenCL C
    .language_version:
      - 2
      - 0
    .max_flat_workgroup_size: 176
    .name:           bluestein_single_fwd_len1232_dim1_sp_op_CI_CI
    .private_segment_fixed_size: 0
    .sgpr_count:     26
    .sgpr_spill_count: 0
    .symbol:         bluestein_single_fwd_len1232_dim1_sp_op_CI_CI.kd
    .uniform_work_group_size: 1
    .uses_dynamic_stack: false
    .vgpr_count:     195
    .vgpr_spill_count: 0
    .wavefront_size: 64
amdhsa.target:   amdgcn-amd-amdhsa--gfx906
amdhsa.version:
  - 1
  - 2
...

	.end_amdgpu_metadata
